;; amdgpu-corpus repo=pytorch/pytorch kind=compiled arch=gfx906 opt=O3
	.amdgcn_target "amdgcn-amd-amdhsa--gfx906"
	.amdhsa_code_object_version 6
	.section	.text._ZN2at6native12cross_kernelIh16OffsetCalculatorILi3EjLb0EElEEviPT_PKS4_S7_T0_T1_S9_S9_,"axG",@progbits,_ZN2at6native12cross_kernelIh16OffsetCalculatorILi3EjLb0EElEEviPT_PKS4_S7_T0_T1_S9_S9_,comdat
	.protected	_ZN2at6native12cross_kernelIh16OffsetCalculatorILi3EjLb0EElEEviPT_PKS4_S7_T0_T1_S9_S9_ ; -- Begin function _ZN2at6native12cross_kernelIh16OffsetCalculatorILi3EjLb0EElEEviPT_PKS4_S7_T0_T1_S9_S9_
	.globl	_ZN2at6native12cross_kernelIh16OffsetCalculatorILi3EjLb0EElEEviPT_PKS4_S7_T0_T1_S9_S9_
	.p2align	8
	.type	_ZN2at6native12cross_kernelIh16OffsetCalculatorILi3EjLb0EElEEviPT_PKS4_S7_T0_T1_S9_S9_,@function
_ZN2at6native12cross_kernelIh16OffsetCalculatorILi3EjLb0EElEEviPT_PKS4_S7_T0_T1_S9_S9_: ; @_ZN2at6native12cross_kernelIh16OffsetCalculatorILi3EjLb0EElEEviPT_PKS4_S7_T0_T1_S9_S9_
; %bb.0:
	s_load_dword s28, s[4:5], 0x0
	s_load_dword s2, s[4:5], 0x1cc
	v_mov_b32_e32 v1, 0
	v_mov_b32_e32 v2, s6
	s_waitcnt lgkmcnt(0)
	s_ashr_i32 s29, s28, 31
	s_add_u32 s0, s4, 0x1c0
	s_addc_u32 s1, s5, 0
	s_and_b32 s2, s2, 0xffff
	v_mad_u64_u32 v[0:1], s[6:7], s2, v2, v[0:1]
	v_cmp_gt_i64_e32 vcc, s[28:29], v[0:1]
	s_and_saveexec_b64 s[6:7], vcc
	s_cbranch_execz .LBB0_13
; %bb.1:
	s_load_dwordx4 s[16:19], s[4:5], 0x8
	s_load_dwordx2 s[34:35], s[4:5], 0x18
	s_load_dwordx8 s[8:15], s[4:5], 0x20
	s_load_dwordx2 s[36:37], s[4:5], 0x1b8
	s_load_dwordx4 s[20:23], s[4:5], 0x1a8
	s_load_dword s3, s[0:1], 0x0
	s_add_u32 s30, s4, 8
	s_waitcnt lgkmcnt(0)
	v_sub_co_u32_e64 v2, s[0:1], s8, 1
	v_readfirstlane_b32 s6, v2
	s_addc_u32 s31, s5, 0
	s_xor_b64 s[0:1], s[0:1], -1
	s_min_u32 s6, s6, 15
	s_cmp_gt_u32 s8, 1
	s_cselect_b64 s[40:41], -1, 0
	s_mov_b32 s8, s13
	s_mul_i32 s13, s3, s2
	s_add_i32 s2, s6, 1
	s_load_dwordx4 s[24:27], s[4:5], 0xe4
	s_load_dwordx2 s[38:39], s[4:5], 0xf4
	s_lshl_b64 s[42:43], s[36:37], 1
	s_and_b32 s15, s2, 30
	s_bitcmp0_b32 s6, 0
	v_cmp_lt_u32_e32 vcc, 1, v2
	v_cndmask_b32_e64 v3, 0, 1, s[0:1]
	s_cselect_b64 s[0:1], -1, 0
	v_cndmask_b32_e64 v2, 0, 1, vcc
	v_cndmask_b32_e64 v4, 0, 1, s[0:1]
	s_mov_b64 s[44:45], 0
	v_cmp_ne_u32_e64 s[0:1], 1, v2
	v_cmp_ne_u32_e64 s[2:3], 1, v3
	;; [unrolled: 1-line block ×3, first 2 shown]
	s_branch .LBB0_3
.LBB0_2:                                ;   in Loop: Header=BB0_3 Depth=1
	v_mov_b32_e32 v3, s19
	v_add_co_u32_e32 v5, vcc, s18, v6
	v_addc_co_u32_e32 v3, vcc, 0, v3, vcc
	v_mov_b32_e32 v7, s35
	v_add_co_u32_e32 v11, vcc, s34, v4
	v_addc_co_u32_e32 v12, vcc, 0, v7, vcc
	;; [unrolled: 3-line block ×4, first 2 shown]
	global_load_ubyte v14, v[7:8], off
	v_add_co_u32_e32 v7, vcc, s22, v7
	v_addc_co_u32_e32 v8, vcc, v8, v13, vcc
	global_load_ubyte v15, v[9:10], off
	v_mov_b32_e32 v3, s37
	v_add_co_u32_e32 v9, vcc, s36, v11
	v_addc_co_u32_e32 v10, vcc, v12, v3, vcc
	global_load_ubyte v11, v6, s[18:19]
	global_load_ubyte v12, v[9:10], off
	global_load_ubyte v13, v4, s[34:35]
	global_load_ubyte v16, v[7:8], off
	v_add_co_u32_e32 v0, vcc, s13, v0
	v_addc_co_u32_e32 v1, vcc, 0, v1, vcc
	v_mov_b32_e32 v3, s17
	v_add_co_u32_e32 v4, vcc, s16, v2
	v_addc_co_u32_e32 v5, vcc, 0, v3, vcc
	v_mov_b32_e32 v6, s21
	v_cmp_le_i64_e32 vcc, s[28:29], v[0:1]
	v_add_co_u32_e64 v3, s[6:7], s20, v4
	v_addc_co_u32_e64 v4, s[6:7], v5, v6, s[6:7]
	v_add_co_u32_e64 v5, s[6:7], s20, v3
	s_or_b64 s[44:45], vcc, s[44:45]
	v_addc_co_u32_e64 v6, s[6:7], v4, v6, s[6:7]
	s_waitcnt vmcnt(4)
	v_mul_lo_u16_e32 v7, v15, v14
	s_waitcnt vmcnt(3)
	v_mul_lo_u16_e32 v8, v11, v15
	;; [unrolled: 2-line block ×5, first 2 shown]
	v_mul_lo_u16_e32 v12, v13, v16
	v_sub_u16_e32 v7, v7, v11
	v_sub_u16_e32 v9, v9, v10
	;; [unrolled: 1-line block ×3, first 2 shown]
	global_store_byte v2, v7, s[16:17]
	global_store_byte v[3:4], v8, off
	global_store_byte v[5:6], v9, off
	s_andn2_b64 exec, exec, s[44:45]
	s_cbranch_execz .LBB0_13
.LBB0_3:                                ; =>This Loop Header: Depth=1
                                        ;     Child Loop BB0_6 Depth 2
	s_and_b64 vcc, exec, s[0:1]
	s_mov_b64 s[6:7], -1
                                        ; implicit-def: $vgpr2
                                        ; implicit-def: $vgpr6
                                        ; implicit-def: $vgpr4
	s_cbranch_vccnz .LBB0_10
; %bb.4:                                ;   in Loop: Header=BB0_3 Depth=1
	v_mov_b32_e32 v2, 0
	s_and_b64 vcc, exec, s[2:3]
	v_mov_b32_e32 v6, 0
	v_mov_b32_e32 v4, 0
	s_cbranch_vccnz .LBB0_9
; %bb.5:                                ;   in Loop: Header=BB0_3 Depth=1
	v_mov_b32_e32 v4, 0
	s_mov_b32 s33, s15
	s_mov_b64 s[6:7], s[30:31]
	v_mov_b32_e32 v6, 0
	v_mov_b32_e32 v2, 0
	;; [unrolled: 1-line block ×3, first 2 shown]
.LBB0_6:                                ;   Parent Loop BB0_3 Depth=1
                                        ; =>  This Inner Loop Header: Depth=2
	s_load_dwordx4 s[48:51], s[6:7], 0x1c
	s_load_dwordx2 s[46:47], s[6:7], 0x2c
	s_load_dwordx2 s[56:57], s[6:7], 0xec
	s_load_dwordx4 s[52:55], s[6:7], 0xdc
	s_add_u32 s6, s6, 24
	s_waitcnt lgkmcnt(0)
	v_mul_hi_u32 v5, s49, v3
	s_addc_u32 s7, s7, 0
	s_add_i32 s33, s33, -2
	s_cmp_lg_u32 s33, 0
	v_add_u32_e32 v5, v3, v5
	v_lshrrev_b32_e32 v5, s50, v5
	v_mul_lo_u32 v7, v5, s48
	v_mul_hi_u32 v8, s46, v5
	v_sub_u32_e32 v7, v3, v7
	v_add_u32_e32 v3, v5, v8
	v_lshrrev_b32_e32 v3, s47, v3
	v_mul_lo_u32 v10, v3, s51
	v_mul_lo_u32 v8, v7, s52
	;; [unrolled: 1-line block ×4, first 2 shown]
	v_sub_u32_e32 v5, v5, v10
	v_mul_lo_u32 v10, v5, s55
	v_mul_lo_u32 v11, v5, s56
	;; [unrolled: 1-line block ×3, first 2 shown]
	v_add3_u32 v2, v8, v2, v10
	v_add3_u32 v6, v9, v6, v11
	;; [unrolled: 1-line block ×3, first 2 shown]
	s_cbranch_scc1 .LBB0_6
; %bb.7:                                ;   in Loop: Header=BB0_3 Depth=1
	s_and_b64 vcc, exec, s[4:5]
	s_cbranch_vccnz .LBB0_9
; %bb.8:                                ;   in Loop: Header=BB0_3 Depth=1
	s_load_dwordx2 s[46:47], s[6:7], 0x1c
	s_load_dword s33, s[6:7], 0x24
	s_load_dwordx2 s[48:49], s[6:7], 0xdc
	s_waitcnt lgkmcnt(0)
	v_mul_hi_u32 v5, s47, v3
	v_add_u32_e32 v5, v3, v5
	v_lshrrev_b32_e32 v5, s33, v5
	v_mul_lo_u32 v5, v5, s46
	s_load_dword s33, s[6:7], 0xe4
	v_sub_u32_e32 v5, v3, v5
	v_mad_u64_u32 v[2:3], s[6:7], v5, s48, v[2:3]
	v_mad_u64_u32 v[6:7], s[6:7], v5, s49, v[6:7]
	s_waitcnt lgkmcnt(0)
	v_mad_u64_u32 v[4:5], s[6:7], v5, s33, v[4:5]
.LBB0_9:                                ;   in Loop: Header=BB0_3 Depth=1
	s_mov_b64 s[6:7], 0
.LBB0_10:                               ;   in Loop: Header=BB0_3 Depth=1
	s_andn2_b64 vcc, exec, s[6:7]
	s_cbranch_vccnz .LBB0_2
; %bb.11:                               ;   in Loop: Header=BB0_3 Depth=1
	v_mul_lo_u32 v2, v1, s10
	v_mul_hi_u32 v3, v0, s10
	s_andn2_b64 vcc, exec, s[40:41]
	v_add3_u32 v2, v3, v2, v0
	v_lshrrev_b32_e32 v3, s11, v2
	v_mul_lo_u32 v2, v3, s9
	v_sub_u32_e32 v4, v0, v2
	s_waitcnt lgkmcnt(0)
	v_mul_lo_u32 v2, v4, s24
	v_mul_lo_u32 v6, v4, s25
	;; [unrolled: 1-line block ×3, first 2 shown]
	s_cbranch_vccnz .LBB0_2
; %bb.12:                               ;   in Loop: Header=BB0_3 Depth=1
	v_mul_hi_u32 v5, s8, v3
	v_add_u32_e32 v5, v3, v5
	v_lshrrev_b32_e32 v5, s14, v5
	v_mul_lo_u32 v5, v5, s12
	v_sub_u32_e32 v5, v3, v5
	v_mad_u64_u32 v[2:3], s[6:7], v5, s27, v[2:3]
	v_mad_u64_u32 v[6:7], s[6:7], v5, s38, v[6:7]
	;; [unrolled: 1-line block ×3, first 2 shown]
	s_branch .LBB0_2
.LBB0_13:
	s_endpgm
	.section	.rodata,"a",@progbits
	.p2align	6, 0x0
	.amdhsa_kernel _ZN2at6native12cross_kernelIh16OffsetCalculatorILi3EjLb0EElEEviPT_PKS4_S7_T0_T1_S9_S9_
		.amdhsa_group_segment_fixed_size 0
		.amdhsa_private_segment_fixed_size 0
		.amdhsa_kernarg_size 704
		.amdhsa_user_sgpr_count 6
		.amdhsa_user_sgpr_private_segment_buffer 1
		.amdhsa_user_sgpr_dispatch_ptr 0
		.amdhsa_user_sgpr_queue_ptr 0
		.amdhsa_user_sgpr_kernarg_segment_ptr 1
		.amdhsa_user_sgpr_dispatch_id 0
		.amdhsa_user_sgpr_flat_scratch_init 0
		.amdhsa_user_sgpr_private_segment_size 0
		.amdhsa_uses_dynamic_stack 0
		.amdhsa_system_sgpr_private_segment_wavefront_offset 0
		.amdhsa_system_sgpr_workgroup_id_x 1
		.amdhsa_system_sgpr_workgroup_id_y 0
		.amdhsa_system_sgpr_workgroup_id_z 0
		.amdhsa_system_sgpr_workgroup_info 0
		.amdhsa_system_vgpr_workitem_id 0
		.amdhsa_next_free_vgpr 17
		.amdhsa_next_free_sgpr 58
		.amdhsa_reserve_vcc 1
		.amdhsa_reserve_flat_scratch 0
		.amdhsa_float_round_mode_32 0
		.amdhsa_float_round_mode_16_64 0
		.amdhsa_float_denorm_mode_32 3
		.amdhsa_float_denorm_mode_16_64 3
		.amdhsa_dx10_clamp 1
		.amdhsa_ieee_mode 1
		.amdhsa_fp16_overflow 0
		.amdhsa_exception_fp_ieee_invalid_op 0
		.amdhsa_exception_fp_denorm_src 0
		.amdhsa_exception_fp_ieee_div_zero 0
		.amdhsa_exception_fp_ieee_overflow 0
		.amdhsa_exception_fp_ieee_underflow 0
		.amdhsa_exception_fp_ieee_inexact 0
		.amdhsa_exception_int_div_zero 0
	.end_amdhsa_kernel
	.section	.text._ZN2at6native12cross_kernelIh16OffsetCalculatorILi3EjLb0EElEEviPT_PKS4_S7_T0_T1_S9_S9_,"axG",@progbits,_ZN2at6native12cross_kernelIh16OffsetCalculatorILi3EjLb0EElEEviPT_PKS4_S7_T0_T1_S9_S9_,comdat
.Lfunc_end0:
	.size	_ZN2at6native12cross_kernelIh16OffsetCalculatorILi3EjLb0EElEEviPT_PKS4_S7_T0_T1_S9_S9_, .Lfunc_end0-_ZN2at6native12cross_kernelIh16OffsetCalculatorILi3EjLb0EElEEviPT_PKS4_S7_T0_T1_S9_S9_
                                        ; -- End function
	.set _ZN2at6native12cross_kernelIh16OffsetCalculatorILi3EjLb0EElEEviPT_PKS4_S7_T0_T1_S9_S9_.num_vgpr, 17
	.set _ZN2at6native12cross_kernelIh16OffsetCalculatorILi3EjLb0EElEEviPT_PKS4_S7_T0_T1_S9_S9_.num_agpr, 0
	.set _ZN2at6native12cross_kernelIh16OffsetCalculatorILi3EjLb0EElEEviPT_PKS4_S7_T0_T1_S9_S9_.numbered_sgpr, 58
	.set _ZN2at6native12cross_kernelIh16OffsetCalculatorILi3EjLb0EElEEviPT_PKS4_S7_T0_T1_S9_S9_.num_named_barrier, 0
	.set _ZN2at6native12cross_kernelIh16OffsetCalculatorILi3EjLb0EElEEviPT_PKS4_S7_T0_T1_S9_S9_.private_seg_size, 0
	.set _ZN2at6native12cross_kernelIh16OffsetCalculatorILi3EjLb0EElEEviPT_PKS4_S7_T0_T1_S9_S9_.uses_vcc, 1
	.set _ZN2at6native12cross_kernelIh16OffsetCalculatorILi3EjLb0EElEEviPT_PKS4_S7_T0_T1_S9_S9_.uses_flat_scratch, 0
	.set _ZN2at6native12cross_kernelIh16OffsetCalculatorILi3EjLb0EElEEviPT_PKS4_S7_T0_T1_S9_S9_.has_dyn_sized_stack, 0
	.set _ZN2at6native12cross_kernelIh16OffsetCalculatorILi3EjLb0EElEEviPT_PKS4_S7_T0_T1_S9_S9_.has_recursion, 0
	.set _ZN2at6native12cross_kernelIh16OffsetCalculatorILi3EjLb0EElEEviPT_PKS4_S7_T0_T1_S9_S9_.has_indirect_call, 0
	.section	.AMDGPU.csdata,"",@progbits
; Kernel info:
; codeLenInByte = 1020
; TotalNumSgprs: 62
; NumVgprs: 17
; ScratchSize: 0
; MemoryBound: 0
; FloatMode: 240
; IeeeMode: 1
; LDSByteSize: 0 bytes/workgroup (compile time only)
; SGPRBlocks: 7
; VGPRBlocks: 4
; NumSGPRsForWavesPerEU: 62
; NumVGPRsForWavesPerEU: 17
; Occupancy: 10
; WaveLimiterHint : 1
; COMPUTE_PGM_RSRC2:SCRATCH_EN: 0
; COMPUTE_PGM_RSRC2:USER_SGPR: 6
; COMPUTE_PGM_RSRC2:TRAP_HANDLER: 0
; COMPUTE_PGM_RSRC2:TGID_X_EN: 1
; COMPUTE_PGM_RSRC2:TGID_Y_EN: 0
; COMPUTE_PGM_RSRC2:TGID_Z_EN: 0
; COMPUTE_PGM_RSRC2:TIDIG_COMP_CNT: 0
	.section	.text._ZN2at6native12cross_kernelIh16OffsetCalculatorILi3EjLb0EEiEEviPT_PKS4_S7_T0_T1_S9_S9_,"axG",@progbits,_ZN2at6native12cross_kernelIh16OffsetCalculatorILi3EjLb0EEiEEviPT_PKS4_S7_T0_T1_S9_S9_,comdat
	.protected	_ZN2at6native12cross_kernelIh16OffsetCalculatorILi3EjLb0EEiEEviPT_PKS4_S7_T0_T1_S9_S9_ ; -- Begin function _ZN2at6native12cross_kernelIh16OffsetCalculatorILi3EjLb0EEiEEviPT_PKS4_S7_T0_T1_S9_S9_
	.globl	_ZN2at6native12cross_kernelIh16OffsetCalculatorILi3EjLb0EEiEEviPT_PKS4_S7_T0_T1_S9_S9_
	.p2align	8
	.type	_ZN2at6native12cross_kernelIh16OffsetCalculatorILi3EjLb0EEiEEviPT_PKS4_S7_T0_T1_S9_S9_,@function
_ZN2at6native12cross_kernelIh16OffsetCalculatorILi3EjLb0EEiEEviPT_PKS4_S7_T0_T1_S9_S9_: ; @_ZN2at6native12cross_kernelIh16OffsetCalculatorILi3EjLb0EEiEEviPT_PKS4_S7_T0_T1_S9_S9_
; %bb.0:
	s_load_dword s28, s[4:5], 0x0
	s_load_dword s2, s[4:5], 0x1bc
	v_mov_b32_e32 v1, 0
	v_mov_b32_e32 v2, s6
	s_waitcnt lgkmcnt(0)
	s_ashr_i32 s29, s28, 31
	s_add_u32 s0, s4, 0x1b0
	s_addc_u32 s1, s5, 0
	s_and_b32 s2, s2, 0xffff
	v_mad_u64_u32 v[0:1], s[6:7], s2, v2, v[0:1]
	v_cmp_gt_i64_e32 vcc, s[28:29], v[0:1]
	s_and_saveexec_b64 s[6:7], vcc
	s_cbranch_execz .LBB1_13
; %bb.1:
	s_load_dwordx8 s[8:15], s[4:5], 0x20
	s_load_dwordx4 s[16:19], s[4:5], 0x8
	s_load_dwordx2 s[34:35], s[4:5], 0x18
	s_load_dwordx4 s[20:23], s[4:5], 0x1a4
	s_load_dword s3, s[0:1], 0x0
	s_waitcnt lgkmcnt(0)
	v_sub_co_u32_e64 v2, s[0:1], s8, 1
	s_add_u32 s30, s4, 8
	v_readfirstlane_b32 s6, v2
	s_addc_u32 s31, s5, 0
	s_xor_b64 s[0:1], s[0:1], -1
	s_min_u32 s6, s6, 15
	s_cmp_gt_u32 s8, 1
	s_cselect_b64 s[38:39], -1, 0
	s_lshl_b32 s23, s22, 1
	s_mul_i32 s45, s3, s2
	s_add_i32 s2, s6, 1
	s_load_dwordx4 s[24:27], s[4:5], 0xe4
	s_load_dwordx2 s[36:37], s[4:5], 0xf4
	s_mov_b32 s8, s13
	s_ashr_i32 s13, s21, 31
	s_ashr_i32 s33, s23, 31
	;; [unrolled: 1-line block ×4, first 2 shown]
	s_and_b32 s46, s2, 30
	s_bitcmp0_b32 s6, 0
	v_cmp_lt_u32_e32 vcc, 1, v2
	v_cndmask_b32_e64 v3, 0, 1, s[0:1]
	s_cselect_b64 s[0:1], -1, 0
	v_cndmask_b32_e64 v2, 0, 1, vcc
	v_cndmask_b32_e64 v4, 0, 1, s[0:1]
	s_mov_b32 s15, s21
	s_mov_b32 s44, s20
	s_mov_b64 s[40:41], 0
	v_cmp_ne_u32_e64 s[0:1], 1, v2
	v_cmp_ne_u32_e64 s[2:3], 1, v3
	;; [unrolled: 1-line block ×3, first 2 shown]
	s_branch .LBB1_3
.LBB1_2:                                ;   in Loop: Header=BB1_3 Depth=1
	v_mov_b32_e32 v3, s19
	v_add_co_u32_e32 v5, vcc, s18, v6
	v_addc_co_u32_e32 v3, vcc, 0, v3, vcc
	v_mov_b32_e32 v7, s35
	v_add_co_u32_e32 v11, vcc, s34, v4
	v_addc_co_u32_e32 v12, vcc, 0, v7, vcc
	;; [unrolled: 3-line block ×4, first 2 shown]
	global_load_ubyte v13, v[7:8], off
	v_mov_b32_e32 v3, s13
	v_add_co_u32_e32 v7, vcc, s21, v7
	v_addc_co_u32_e32 v8, vcc, v8, v3, vcc
	global_load_ubyte v14, v[9:10], off
	v_mov_b32_e32 v3, s42
	v_add_co_u32_e32 v9, vcc, s22, v11
	v_addc_co_u32_e32 v10, vcc, v12, v3, vcc
	global_load_ubyte v11, v6, s[18:19]
	global_load_ubyte v12, v[9:10], off
	global_load_ubyte v15, v4, s[34:35]
	global_load_ubyte v16, v[7:8], off
	v_add_co_u32_e32 v0, vcc, s45, v0
	v_addc_co_u32_e32 v1, vcc, 0, v1, vcc
	v_mov_b32_e32 v3, s17
	v_add_co_u32_e32 v5, vcc, s16, v2
	v_addc_co_u32_e32 v7, vcc, 0, v3, vcc
	v_mov_b32_e32 v4, s43
	v_cmp_le_i64_e32 vcc, s[28:29], v[0:1]
	v_add_co_u32_e64 v3, s[6:7], s44, v5
	v_addc_co_u32_e64 v4, s[6:7], v7, v4, s[6:7]
	v_mov_b32_e32 v6, s43
	v_add_co_u32_e64 v5, s[6:7], s20, v3
	s_or_b64 s[40:41], vcc, s[40:41]
	v_addc_co_u32_e64 v6, s[6:7], v4, v6, s[6:7]
	s_waitcnt vmcnt(4)
	v_mul_lo_u16_e32 v7, v14, v13
	s_waitcnt vmcnt(3)
	v_mul_lo_u16_e32 v8, v11, v14
	;; [unrolled: 2-line block ×5, first 2 shown]
	v_mul_lo_u16_e32 v12, v15, v16
	v_sub_u16_e32 v7, v7, v11
	v_sub_u16_e32 v9, v9, v10
	;; [unrolled: 1-line block ×3, first 2 shown]
	global_store_byte v2, v7, s[16:17]
	global_store_byte v[3:4], v8, off
	global_store_byte v[5:6], v9, off
	s_andn2_b64 exec, exec, s[40:41]
	s_cbranch_execz .LBB1_13
.LBB1_3:                                ; =>This Loop Header: Depth=1
                                        ;     Child Loop BB1_6 Depth 2
	s_and_b64 vcc, exec, s[0:1]
	s_mov_b64 s[6:7], -1
                                        ; implicit-def: $vgpr2
                                        ; implicit-def: $vgpr6
                                        ; implicit-def: $vgpr4
	s_cbranch_vccnz .LBB1_10
; %bb.4:                                ;   in Loop: Header=BB1_3 Depth=1
	v_mov_b32_e32 v2, 0
	s_and_b64 vcc, exec, s[2:3]
	v_mov_b32_e32 v6, 0
	v_mov_b32_e32 v4, 0
	s_cbranch_vccnz .LBB1_9
; %bb.5:                                ;   in Loop: Header=BB1_3 Depth=1
	v_mov_b32_e32 v4, 0
	s_mov_b32 s47, s46
	s_mov_b64 s[6:7], s[30:31]
	v_mov_b32_e32 v6, 0
	v_mov_b32_e32 v2, 0
	;; [unrolled: 1-line block ×3, first 2 shown]
.LBB1_6:                                ;   Parent Loop BB1_3 Depth=1
                                        ; =>  This Inner Loop Header: Depth=2
	s_load_dwordx4 s[48:51], s[6:7], 0x1c
	s_load_dwordx2 s[56:57], s[6:7], 0x2c
	s_load_dwordx2 s[58:59], s[6:7], 0xec
	s_load_dwordx4 s[52:55], s[6:7], 0xdc
	s_add_u32 s6, s6, 24
	s_waitcnt lgkmcnt(0)
	v_mul_hi_u32 v5, s49, v3
	s_addc_u32 s7, s7, 0
	s_add_i32 s47, s47, -2
	s_cmp_lg_u32 s47, 0
	v_add_u32_e32 v5, v3, v5
	v_lshrrev_b32_e32 v5, s50, v5
	v_mul_lo_u32 v7, v5, s48
	v_mul_hi_u32 v8, s56, v5
	v_sub_u32_e32 v7, v3, v7
	v_add_u32_e32 v3, v5, v8
	v_lshrrev_b32_e32 v3, s57, v3
	v_mul_lo_u32 v10, v3, s51
	v_mul_lo_u32 v8, v7, s52
	;; [unrolled: 1-line block ×4, first 2 shown]
	v_sub_u32_e32 v5, v5, v10
	v_mul_lo_u32 v10, v5, s55
	v_mul_lo_u32 v11, v5, s58
	v_mul_lo_u32 v5, v5, s59
	v_add3_u32 v2, v8, v2, v10
	v_add3_u32 v6, v9, v6, v11
	;; [unrolled: 1-line block ×3, first 2 shown]
	s_cbranch_scc1 .LBB1_6
; %bb.7:                                ;   in Loop: Header=BB1_3 Depth=1
	s_and_b64 vcc, exec, s[4:5]
	s_cbranch_vccnz .LBB1_9
; %bb.8:                                ;   in Loop: Header=BB1_3 Depth=1
	s_load_dwordx2 s[48:49], s[6:7], 0x1c
	s_load_dword s47, s[6:7], 0x24
	s_load_dwordx2 s[50:51], s[6:7], 0xdc
	s_waitcnt lgkmcnt(0)
	v_mul_hi_u32 v5, s49, v3
	v_add_u32_e32 v5, v3, v5
	v_lshrrev_b32_e32 v5, s47, v5
	v_mul_lo_u32 v5, v5, s48
	s_load_dword s47, s[6:7], 0xe4
	v_sub_u32_e32 v5, v3, v5
	v_mad_u64_u32 v[2:3], s[6:7], v5, s50, v[2:3]
	v_mad_u64_u32 v[6:7], s[6:7], v5, s51, v[6:7]
	s_waitcnt lgkmcnt(0)
	v_mad_u64_u32 v[4:5], s[6:7], v5, s47, v[4:5]
.LBB1_9:                                ;   in Loop: Header=BB1_3 Depth=1
	s_mov_b64 s[6:7], 0
.LBB1_10:                               ;   in Loop: Header=BB1_3 Depth=1
	s_andn2_b64 vcc, exec, s[6:7]
	s_cbranch_vccnz .LBB1_2
; %bb.11:                               ;   in Loop: Header=BB1_3 Depth=1
	v_mul_lo_u32 v2, v1, s10
	v_mul_hi_u32 v3, v0, s10
	s_andn2_b64 vcc, exec, s[38:39]
	v_add3_u32 v2, v3, v2, v0
	v_lshrrev_b32_e32 v3, s11, v2
	v_mul_lo_u32 v2, v3, s9
	v_sub_u32_e32 v4, v0, v2
	s_waitcnt lgkmcnt(0)
	v_mul_lo_u32 v2, v4, s24
	v_mul_lo_u32 v6, v4, s25
	;; [unrolled: 1-line block ×3, first 2 shown]
	s_cbranch_vccnz .LBB1_2
; %bb.12:                               ;   in Loop: Header=BB1_3 Depth=1
	v_mul_hi_u32 v5, s8, v3
	v_add_u32_e32 v5, v3, v5
	v_lshrrev_b32_e32 v5, s14, v5
	v_mul_lo_u32 v5, v5, s12
	v_sub_u32_e32 v5, v3, v5
	v_mad_u64_u32 v[2:3], s[6:7], v5, s27, v[2:3]
	v_mad_u64_u32 v[6:7], s[6:7], v5, s36, v[6:7]
	;; [unrolled: 1-line block ×3, first 2 shown]
	s_branch .LBB1_2
.LBB1_13:
	s_endpgm
	.section	.rodata,"a",@progbits
	.p2align	6, 0x0
	.amdhsa_kernel _ZN2at6native12cross_kernelIh16OffsetCalculatorILi3EjLb0EEiEEviPT_PKS4_S7_T0_T1_S9_S9_
		.amdhsa_group_segment_fixed_size 0
		.amdhsa_private_segment_fixed_size 0
		.amdhsa_kernarg_size 688
		.amdhsa_user_sgpr_count 6
		.amdhsa_user_sgpr_private_segment_buffer 1
		.amdhsa_user_sgpr_dispatch_ptr 0
		.amdhsa_user_sgpr_queue_ptr 0
		.amdhsa_user_sgpr_kernarg_segment_ptr 1
		.amdhsa_user_sgpr_dispatch_id 0
		.amdhsa_user_sgpr_flat_scratch_init 0
		.amdhsa_user_sgpr_private_segment_size 0
		.amdhsa_uses_dynamic_stack 0
		.amdhsa_system_sgpr_private_segment_wavefront_offset 0
		.amdhsa_system_sgpr_workgroup_id_x 1
		.amdhsa_system_sgpr_workgroup_id_y 0
		.amdhsa_system_sgpr_workgroup_id_z 0
		.amdhsa_system_sgpr_workgroup_info 0
		.amdhsa_system_vgpr_workitem_id 0
		.amdhsa_next_free_vgpr 17
		.amdhsa_next_free_sgpr 60
		.amdhsa_reserve_vcc 1
		.amdhsa_reserve_flat_scratch 0
		.amdhsa_float_round_mode_32 0
		.amdhsa_float_round_mode_16_64 0
		.amdhsa_float_denorm_mode_32 3
		.amdhsa_float_denorm_mode_16_64 3
		.amdhsa_dx10_clamp 1
		.amdhsa_ieee_mode 1
		.amdhsa_fp16_overflow 0
		.amdhsa_exception_fp_ieee_invalid_op 0
		.amdhsa_exception_fp_denorm_src 0
		.amdhsa_exception_fp_ieee_div_zero 0
		.amdhsa_exception_fp_ieee_overflow 0
		.amdhsa_exception_fp_ieee_underflow 0
		.amdhsa_exception_fp_ieee_inexact 0
		.amdhsa_exception_int_div_zero 0
	.end_amdhsa_kernel
	.section	.text._ZN2at6native12cross_kernelIh16OffsetCalculatorILi3EjLb0EEiEEviPT_PKS4_S7_T0_T1_S9_S9_,"axG",@progbits,_ZN2at6native12cross_kernelIh16OffsetCalculatorILi3EjLb0EEiEEviPT_PKS4_S7_T0_T1_S9_S9_,comdat
.Lfunc_end1:
	.size	_ZN2at6native12cross_kernelIh16OffsetCalculatorILi3EjLb0EEiEEviPT_PKS4_S7_T0_T1_S9_S9_, .Lfunc_end1-_ZN2at6native12cross_kernelIh16OffsetCalculatorILi3EjLb0EEiEEviPT_PKS4_S7_T0_T1_S9_S9_
                                        ; -- End function
	.set _ZN2at6native12cross_kernelIh16OffsetCalculatorILi3EjLb0EEiEEviPT_PKS4_S7_T0_T1_S9_S9_.num_vgpr, 17
	.set _ZN2at6native12cross_kernelIh16OffsetCalculatorILi3EjLb0EEiEEviPT_PKS4_S7_T0_T1_S9_S9_.num_agpr, 0
	.set _ZN2at6native12cross_kernelIh16OffsetCalculatorILi3EjLb0EEiEEviPT_PKS4_S7_T0_T1_S9_S9_.numbered_sgpr, 60
	.set _ZN2at6native12cross_kernelIh16OffsetCalculatorILi3EjLb0EEiEEviPT_PKS4_S7_T0_T1_S9_S9_.num_named_barrier, 0
	.set _ZN2at6native12cross_kernelIh16OffsetCalculatorILi3EjLb0EEiEEviPT_PKS4_S7_T0_T1_S9_S9_.private_seg_size, 0
	.set _ZN2at6native12cross_kernelIh16OffsetCalculatorILi3EjLb0EEiEEviPT_PKS4_S7_T0_T1_S9_S9_.uses_vcc, 1
	.set _ZN2at6native12cross_kernelIh16OffsetCalculatorILi3EjLb0EEiEEviPT_PKS4_S7_T0_T1_S9_S9_.uses_flat_scratch, 0
	.set _ZN2at6native12cross_kernelIh16OffsetCalculatorILi3EjLb0EEiEEviPT_PKS4_S7_T0_T1_S9_S9_.has_dyn_sized_stack, 0
	.set _ZN2at6native12cross_kernelIh16OffsetCalculatorILi3EjLb0EEiEEviPT_PKS4_S7_T0_T1_S9_S9_.has_recursion, 0
	.set _ZN2at6native12cross_kernelIh16OffsetCalculatorILi3EjLb0EEiEEviPT_PKS4_S7_T0_T1_S9_S9_.has_indirect_call, 0
	.section	.AMDGPU.csdata,"",@progbits
; Kernel info:
; codeLenInByte = 1044
; TotalNumSgprs: 64
; NumVgprs: 17
; ScratchSize: 0
; MemoryBound: 0
; FloatMode: 240
; IeeeMode: 1
; LDSByteSize: 0 bytes/workgroup (compile time only)
; SGPRBlocks: 7
; VGPRBlocks: 4
; NumSGPRsForWavesPerEU: 64
; NumVGPRsForWavesPerEU: 17
; Occupancy: 10
; WaveLimiterHint : 1
; COMPUTE_PGM_RSRC2:SCRATCH_EN: 0
; COMPUTE_PGM_RSRC2:USER_SGPR: 6
; COMPUTE_PGM_RSRC2:TRAP_HANDLER: 0
; COMPUTE_PGM_RSRC2:TGID_X_EN: 1
; COMPUTE_PGM_RSRC2:TGID_Y_EN: 0
; COMPUTE_PGM_RSRC2:TGID_Z_EN: 0
; COMPUTE_PGM_RSRC2:TIDIG_COMP_CNT: 0
	.section	.text._ZN2at6native12cross_kernelIa16OffsetCalculatorILi3EjLb0EElEEviPT_PKS4_S7_T0_T1_S9_S9_,"axG",@progbits,_ZN2at6native12cross_kernelIa16OffsetCalculatorILi3EjLb0EElEEviPT_PKS4_S7_T0_T1_S9_S9_,comdat
	.protected	_ZN2at6native12cross_kernelIa16OffsetCalculatorILi3EjLb0EElEEviPT_PKS4_S7_T0_T1_S9_S9_ ; -- Begin function _ZN2at6native12cross_kernelIa16OffsetCalculatorILi3EjLb0EElEEviPT_PKS4_S7_T0_T1_S9_S9_
	.globl	_ZN2at6native12cross_kernelIa16OffsetCalculatorILi3EjLb0EElEEviPT_PKS4_S7_T0_T1_S9_S9_
	.p2align	8
	.type	_ZN2at6native12cross_kernelIa16OffsetCalculatorILi3EjLb0EElEEviPT_PKS4_S7_T0_T1_S9_S9_,@function
_ZN2at6native12cross_kernelIa16OffsetCalculatorILi3EjLb0EElEEviPT_PKS4_S7_T0_T1_S9_S9_: ; @_ZN2at6native12cross_kernelIa16OffsetCalculatorILi3EjLb0EElEEviPT_PKS4_S7_T0_T1_S9_S9_
; %bb.0:
	s_load_dword s28, s[4:5], 0x0
	s_load_dword s2, s[4:5], 0x1cc
	v_mov_b32_e32 v1, 0
	v_mov_b32_e32 v2, s6
	s_waitcnt lgkmcnt(0)
	s_ashr_i32 s29, s28, 31
	s_add_u32 s0, s4, 0x1c0
	s_addc_u32 s1, s5, 0
	s_and_b32 s2, s2, 0xffff
	v_mad_u64_u32 v[0:1], s[6:7], s2, v2, v[0:1]
	v_cmp_gt_i64_e32 vcc, s[28:29], v[0:1]
	s_and_saveexec_b64 s[6:7], vcc
	s_cbranch_execz .LBB2_13
; %bb.1:
	s_load_dwordx4 s[16:19], s[4:5], 0x8
	s_load_dwordx2 s[34:35], s[4:5], 0x18
	s_load_dwordx8 s[8:15], s[4:5], 0x20
	s_load_dwordx2 s[36:37], s[4:5], 0x1b8
	s_load_dwordx4 s[20:23], s[4:5], 0x1a8
	s_load_dword s3, s[0:1], 0x0
	s_add_u32 s30, s4, 8
	s_waitcnt lgkmcnt(0)
	v_sub_co_u32_e64 v2, s[0:1], s8, 1
	v_readfirstlane_b32 s6, v2
	s_addc_u32 s31, s5, 0
	s_xor_b64 s[0:1], s[0:1], -1
	s_min_u32 s6, s6, 15
	s_cmp_gt_u32 s8, 1
	s_cselect_b64 s[40:41], -1, 0
	s_mov_b32 s8, s13
	s_mul_i32 s13, s3, s2
	s_add_i32 s2, s6, 1
	s_load_dwordx4 s[24:27], s[4:5], 0xe4
	s_load_dwordx2 s[38:39], s[4:5], 0xf4
	s_lshl_b64 s[42:43], s[36:37], 1
	s_and_b32 s15, s2, 30
	s_bitcmp0_b32 s6, 0
	v_cmp_lt_u32_e32 vcc, 1, v2
	v_cndmask_b32_e64 v3, 0, 1, s[0:1]
	s_cselect_b64 s[0:1], -1, 0
	v_cndmask_b32_e64 v2, 0, 1, vcc
	v_cndmask_b32_e64 v4, 0, 1, s[0:1]
	s_mov_b64 s[44:45], 0
	v_cmp_ne_u32_e64 s[0:1], 1, v2
	v_cmp_ne_u32_e64 s[2:3], 1, v3
	;; [unrolled: 1-line block ×3, first 2 shown]
	s_branch .LBB2_3
.LBB2_2:                                ;   in Loop: Header=BB2_3 Depth=1
	v_mov_b32_e32 v3, s19
	v_add_co_u32_e32 v5, vcc, s18, v6
	v_addc_co_u32_e32 v3, vcc, 0, v3, vcc
	v_mov_b32_e32 v7, s35
	v_add_co_u32_e32 v11, vcc, s34, v4
	v_addc_co_u32_e32 v12, vcc, 0, v7, vcc
	;; [unrolled: 3-line block ×4, first 2 shown]
	global_load_ubyte v14, v[7:8], off
	v_add_co_u32_e32 v7, vcc, s22, v7
	v_addc_co_u32_e32 v8, vcc, v8, v13, vcc
	global_load_ubyte v15, v[9:10], off
	v_mov_b32_e32 v3, s37
	v_add_co_u32_e32 v9, vcc, s36, v11
	v_addc_co_u32_e32 v10, vcc, v12, v3, vcc
	global_load_ubyte v11, v6, s[18:19]
	global_load_ubyte v12, v[9:10], off
	global_load_ubyte v13, v4, s[34:35]
	global_load_ubyte v16, v[7:8], off
	v_add_co_u32_e32 v0, vcc, s13, v0
	v_addc_co_u32_e32 v1, vcc, 0, v1, vcc
	v_mov_b32_e32 v3, s17
	v_add_co_u32_e32 v4, vcc, s16, v2
	v_addc_co_u32_e32 v5, vcc, 0, v3, vcc
	v_mov_b32_e32 v6, s21
	v_cmp_le_i64_e32 vcc, s[28:29], v[0:1]
	v_add_co_u32_e64 v3, s[6:7], s20, v4
	v_addc_co_u32_e64 v4, s[6:7], v5, v6, s[6:7]
	v_add_co_u32_e64 v5, s[6:7], s20, v3
	s_or_b64 s[44:45], vcc, s[44:45]
	v_addc_co_u32_e64 v6, s[6:7], v4, v6, s[6:7]
	s_waitcnt vmcnt(4)
	v_mul_lo_u16_e32 v7, v15, v14
	s_waitcnt vmcnt(3)
	v_mul_lo_u16_e32 v8, v11, v15
	s_waitcnt vmcnt(2)
	v_mul_lo_u16_e32 v9, v11, v12
	s_waitcnt vmcnt(1)
	v_mul_lo_u16_e32 v10, v13, v14
	s_waitcnt vmcnt(0)
	v_mul_lo_u16_e32 v11, v12, v16
	v_mul_lo_u16_e32 v12, v13, v16
	v_sub_u16_e32 v7, v7, v11
	v_sub_u16_e32 v9, v9, v10
	v_sub_u16_e32 v8, v12, v8
	global_store_byte v2, v7, s[16:17]
	global_store_byte v[3:4], v8, off
	global_store_byte v[5:6], v9, off
	s_andn2_b64 exec, exec, s[44:45]
	s_cbranch_execz .LBB2_13
.LBB2_3:                                ; =>This Loop Header: Depth=1
                                        ;     Child Loop BB2_6 Depth 2
	s_and_b64 vcc, exec, s[0:1]
	s_mov_b64 s[6:7], -1
                                        ; implicit-def: $vgpr2
                                        ; implicit-def: $vgpr6
                                        ; implicit-def: $vgpr4
	s_cbranch_vccnz .LBB2_10
; %bb.4:                                ;   in Loop: Header=BB2_3 Depth=1
	v_mov_b32_e32 v2, 0
	s_and_b64 vcc, exec, s[2:3]
	v_mov_b32_e32 v6, 0
	v_mov_b32_e32 v4, 0
	s_cbranch_vccnz .LBB2_9
; %bb.5:                                ;   in Loop: Header=BB2_3 Depth=1
	v_mov_b32_e32 v4, 0
	s_mov_b32 s33, s15
	s_mov_b64 s[6:7], s[30:31]
	v_mov_b32_e32 v6, 0
	v_mov_b32_e32 v2, 0
	v_mov_b32_e32 v3, v0
.LBB2_6:                                ;   Parent Loop BB2_3 Depth=1
                                        ; =>  This Inner Loop Header: Depth=2
	s_load_dwordx4 s[48:51], s[6:7], 0x1c
	s_load_dwordx2 s[46:47], s[6:7], 0x2c
	s_load_dwordx2 s[56:57], s[6:7], 0xec
	s_load_dwordx4 s[52:55], s[6:7], 0xdc
	s_add_u32 s6, s6, 24
	s_waitcnt lgkmcnt(0)
	v_mul_hi_u32 v5, s49, v3
	s_addc_u32 s7, s7, 0
	s_add_i32 s33, s33, -2
	s_cmp_lg_u32 s33, 0
	v_add_u32_e32 v5, v3, v5
	v_lshrrev_b32_e32 v5, s50, v5
	v_mul_lo_u32 v7, v5, s48
	v_mul_hi_u32 v8, s46, v5
	v_sub_u32_e32 v7, v3, v7
	v_add_u32_e32 v3, v5, v8
	v_lshrrev_b32_e32 v3, s47, v3
	v_mul_lo_u32 v10, v3, s51
	v_mul_lo_u32 v8, v7, s52
	;; [unrolled: 1-line block ×4, first 2 shown]
	v_sub_u32_e32 v5, v5, v10
	v_mul_lo_u32 v10, v5, s55
	v_mul_lo_u32 v11, v5, s56
	;; [unrolled: 1-line block ×3, first 2 shown]
	v_add3_u32 v2, v8, v2, v10
	v_add3_u32 v6, v9, v6, v11
	;; [unrolled: 1-line block ×3, first 2 shown]
	s_cbranch_scc1 .LBB2_6
; %bb.7:                                ;   in Loop: Header=BB2_3 Depth=1
	s_and_b64 vcc, exec, s[4:5]
	s_cbranch_vccnz .LBB2_9
; %bb.8:                                ;   in Loop: Header=BB2_3 Depth=1
	s_load_dwordx2 s[46:47], s[6:7], 0x1c
	s_load_dword s33, s[6:7], 0x24
	s_load_dwordx2 s[48:49], s[6:7], 0xdc
	s_waitcnt lgkmcnt(0)
	v_mul_hi_u32 v5, s47, v3
	v_add_u32_e32 v5, v3, v5
	v_lshrrev_b32_e32 v5, s33, v5
	v_mul_lo_u32 v5, v5, s46
	s_load_dword s33, s[6:7], 0xe4
	v_sub_u32_e32 v5, v3, v5
	v_mad_u64_u32 v[2:3], s[6:7], v5, s48, v[2:3]
	v_mad_u64_u32 v[6:7], s[6:7], v5, s49, v[6:7]
	s_waitcnt lgkmcnt(0)
	v_mad_u64_u32 v[4:5], s[6:7], v5, s33, v[4:5]
.LBB2_9:                                ;   in Loop: Header=BB2_3 Depth=1
	s_mov_b64 s[6:7], 0
.LBB2_10:                               ;   in Loop: Header=BB2_3 Depth=1
	s_andn2_b64 vcc, exec, s[6:7]
	s_cbranch_vccnz .LBB2_2
; %bb.11:                               ;   in Loop: Header=BB2_3 Depth=1
	v_mul_lo_u32 v2, v1, s10
	v_mul_hi_u32 v3, v0, s10
	s_andn2_b64 vcc, exec, s[40:41]
	v_add3_u32 v2, v3, v2, v0
	v_lshrrev_b32_e32 v3, s11, v2
	v_mul_lo_u32 v2, v3, s9
	v_sub_u32_e32 v4, v0, v2
	s_waitcnt lgkmcnt(0)
	v_mul_lo_u32 v2, v4, s24
	v_mul_lo_u32 v6, v4, s25
	;; [unrolled: 1-line block ×3, first 2 shown]
	s_cbranch_vccnz .LBB2_2
; %bb.12:                               ;   in Loop: Header=BB2_3 Depth=1
	v_mul_hi_u32 v5, s8, v3
	v_add_u32_e32 v5, v3, v5
	v_lshrrev_b32_e32 v5, s14, v5
	v_mul_lo_u32 v5, v5, s12
	v_sub_u32_e32 v5, v3, v5
	v_mad_u64_u32 v[2:3], s[6:7], v5, s27, v[2:3]
	v_mad_u64_u32 v[6:7], s[6:7], v5, s38, v[6:7]
	;; [unrolled: 1-line block ×3, first 2 shown]
	s_branch .LBB2_2
.LBB2_13:
	s_endpgm
	.section	.rodata,"a",@progbits
	.p2align	6, 0x0
	.amdhsa_kernel _ZN2at6native12cross_kernelIa16OffsetCalculatorILi3EjLb0EElEEviPT_PKS4_S7_T0_T1_S9_S9_
		.amdhsa_group_segment_fixed_size 0
		.amdhsa_private_segment_fixed_size 0
		.amdhsa_kernarg_size 704
		.amdhsa_user_sgpr_count 6
		.amdhsa_user_sgpr_private_segment_buffer 1
		.amdhsa_user_sgpr_dispatch_ptr 0
		.amdhsa_user_sgpr_queue_ptr 0
		.amdhsa_user_sgpr_kernarg_segment_ptr 1
		.amdhsa_user_sgpr_dispatch_id 0
		.amdhsa_user_sgpr_flat_scratch_init 0
		.amdhsa_user_sgpr_private_segment_size 0
		.amdhsa_uses_dynamic_stack 0
		.amdhsa_system_sgpr_private_segment_wavefront_offset 0
		.amdhsa_system_sgpr_workgroup_id_x 1
		.amdhsa_system_sgpr_workgroup_id_y 0
		.amdhsa_system_sgpr_workgroup_id_z 0
		.amdhsa_system_sgpr_workgroup_info 0
		.amdhsa_system_vgpr_workitem_id 0
		.amdhsa_next_free_vgpr 17
		.amdhsa_next_free_sgpr 58
		.amdhsa_reserve_vcc 1
		.amdhsa_reserve_flat_scratch 0
		.amdhsa_float_round_mode_32 0
		.amdhsa_float_round_mode_16_64 0
		.amdhsa_float_denorm_mode_32 3
		.amdhsa_float_denorm_mode_16_64 3
		.amdhsa_dx10_clamp 1
		.amdhsa_ieee_mode 1
		.amdhsa_fp16_overflow 0
		.amdhsa_exception_fp_ieee_invalid_op 0
		.amdhsa_exception_fp_denorm_src 0
		.amdhsa_exception_fp_ieee_div_zero 0
		.amdhsa_exception_fp_ieee_overflow 0
		.amdhsa_exception_fp_ieee_underflow 0
		.amdhsa_exception_fp_ieee_inexact 0
		.amdhsa_exception_int_div_zero 0
	.end_amdhsa_kernel
	.section	.text._ZN2at6native12cross_kernelIa16OffsetCalculatorILi3EjLb0EElEEviPT_PKS4_S7_T0_T1_S9_S9_,"axG",@progbits,_ZN2at6native12cross_kernelIa16OffsetCalculatorILi3EjLb0EElEEviPT_PKS4_S7_T0_T1_S9_S9_,comdat
.Lfunc_end2:
	.size	_ZN2at6native12cross_kernelIa16OffsetCalculatorILi3EjLb0EElEEviPT_PKS4_S7_T0_T1_S9_S9_, .Lfunc_end2-_ZN2at6native12cross_kernelIa16OffsetCalculatorILi3EjLb0EElEEviPT_PKS4_S7_T0_T1_S9_S9_
                                        ; -- End function
	.set _ZN2at6native12cross_kernelIa16OffsetCalculatorILi3EjLb0EElEEviPT_PKS4_S7_T0_T1_S9_S9_.num_vgpr, 17
	.set _ZN2at6native12cross_kernelIa16OffsetCalculatorILi3EjLb0EElEEviPT_PKS4_S7_T0_T1_S9_S9_.num_agpr, 0
	.set _ZN2at6native12cross_kernelIa16OffsetCalculatorILi3EjLb0EElEEviPT_PKS4_S7_T0_T1_S9_S9_.numbered_sgpr, 58
	.set _ZN2at6native12cross_kernelIa16OffsetCalculatorILi3EjLb0EElEEviPT_PKS4_S7_T0_T1_S9_S9_.num_named_barrier, 0
	.set _ZN2at6native12cross_kernelIa16OffsetCalculatorILi3EjLb0EElEEviPT_PKS4_S7_T0_T1_S9_S9_.private_seg_size, 0
	.set _ZN2at6native12cross_kernelIa16OffsetCalculatorILi3EjLb0EElEEviPT_PKS4_S7_T0_T1_S9_S9_.uses_vcc, 1
	.set _ZN2at6native12cross_kernelIa16OffsetCalculatorILi3EjLb0EElEEviPT_PKS4_S7_T0_T1_S9_S9_.uses_flat_scratch, 0
	.set _ZN2at6native12cross_kernelIa16OffsetCalculatorILi3EjLb0EElEEviPT_PKS4_S7_T0_T1_S9_S9_.has_dyn_sized_stack, 0
	.set _ZN2at6native12cross_kernelIa16OffsetCalculatorILi3EjLb0EElEEviPT_PKS4_S7_T0_T1_S9_S9_.has_recursion, 0
	.set _ZN2at6native12cross_kernelIa16OffsetCalculatorILi3EjLb0EElEEviPT_PKS4_S7_T0_T1_S9_S9_.has_indirect_call, 0
	.section	.AMDGPU.csdata,"",@progbits
; Kernel info:
; codeLenInByte = 1020
; TotalNumSgprs: 62
; NumVgprs: 17
; ScratchSize: 0
; MemoryBound: 0
; FloatMode: 240
; IeeeMode: 1
; LDSByteSize: 0 bytes/workgroup (compile time only)
; SGPRBlocks: 7
; VGPRBlocks: 4
; NumSGPRsForWavesPerEU: 62
; NumVGPRsForWavesPerEU: 17
; Occupancy: 10
; WaveLimiterHint : 1
; COMPUTE_PGM_RSRC2:SCRATCH_EN: 0
; COMPUTE_PGM_RSRC2:USER_SGPR: 6
; COMPUTE_PGM_RSRC2:TRAP_HANDLER: 0
; COMPUTE_PGM_RSRC2:TGID_X_EN: 1
; COMPUTE_PGM_RSRC2:TGID_Y_EN: 0
; COMPUTE_PGM_RSRC2:TGID_Z_EN: 0
; COMPUTE_PGM_RSRC2:TIDIG_COMP_CNT: 0
	.section	.text._ZN2at6native12cross_kernelIa16OffsetCalculatorILi3EjLb0EEiEEviPT_PKS4_S7_T0_T1_S9_S9_,"axG",@progbits,_ZN2at6native12cross_kernelIa16OffsetCalculatorILi3EjLb0EEiEEviPT_PKS4_S7_T0_T1_S9_S9_,comdat
	.protected	_ZN2at6native12cross_kernelIa16OffsetCalculatorILi3EjLb0EEiEEviPT_PKS4_S7_T0_T1_S9_S9_ ; -- Begin function _ZN2at6native12cross_kernelIa16OffsetCalculatorILi3EjLb0EEiEEviPT_PKS4_S7_T0_T1_S9_S9_
	.globl	_ZN2at6native12cross_kernelIa16OffsetCalculatorILi3EjLb0EEiEEviPT_PKS4_S7_T0_T1_S9_S9_
	.p2align	8
	.type	_ZN2at6native12cross_kernelIa16OffsetCalculatorILi3EjLb0EEiEEviPT_PKS4_S7_T0_T1_S9_S9_,@function
_ZN2at6native12cross_kernelIa16OffsetCalculatorILi3EjLb0EEiEEviPT_PKS4_S7_T0_T1_S9_S9_: ; @_ZN2at6native12cross_kernelIa16OffsetCalculatorILi3EjLb0EEiEEviPT_PKS4_S7_T0_T1_S9_S9_
; %bb.0:
	s_load_dword s28, s[4:5], 0x0
	s_load_dword s2, s[4:5], 0x1bc
	v_mov_b32_e32 v1, 0
	v_mov_b32_e32 v2, s6
	s_waitcnt lgkmcnt(0)
	s_ashr_i32 s29, s28, 31
	s_add_u32 s0, s4, 0x1b0
	s_addc_u32 s1, s5, 0
	s_and_b32 s2, s2, 0xffff
	v_mad_u64_u32 v[0:1], s[6:7], s2, v2, v[0:1]
	v_cmp_gt_i64_e32 vcc, s[28:29], v[0:1]
	s_and_saveexec_b64 s[6:7], vcc
	s_cbranch_execz .LBB3_13
; %bb.1:
	s_load_dwordx8 s[8:15], s[4:5], 0x20
	s_load_dwordx4 s[16:19], s[4:5], 0x8
	s_load_dwordx2 s[34:35], s[4:5], 0x18
	s_load_dwordx4 s[20:23], s[4:5], 0x1a4
	s_load_dword s3, s[0:1], 0x0
	s_waitcnt lgkmcnt(0)
	v_sub_co_u32_e64 v2, s[0:1], s8, 1
	s_add_u32 s30, s4, 8
	v_readfirstlane_b32 s6, v2
	s_addc_u32 s31, s5, 0
	s_xor_b64 s[0:1], s[0:1], -1
	s_min_u32 s6, s6, 15
	s_cmp_gt_u32 s8, 1
	s_cselect_b64 s[38:39], -1, 0
	s_lshl_b32 s23, s22, 1
	s_mul_i32 s45, s3, s2
	s_add_i32 s2, s6, 1
	s_load_dwordx4 s[24:27], s[4:5], 0xe4
	s_load_dwordx2 s[36:37], s[4:5], 0xf4
	s_mov_b32 s8, s13
	s_ashr_i32 s13, s21, 31
	s_ashr_i32 s33, s23, 31
	;; [unrolled: 1-line block ×4, first 2 shown]
	s_and_b32 s46, s2, 30
	s_bitcmp0_b32 s6, 0
	v_cmp_lt_u32_e32 vcc, 1, v2
	v_cndmask_b32_e64 v3, 0, 1, s[0:1]
	s_cselect_b64 s[0:1], -1, 0
	v_cndmask_b32_e64 v2, 0, 1, vcc
	v_cndmask_b32_e64 v4, 0, 1, s[0:1]
	s_mov_b32 s15, s21
	s_mov_b32 s44, s20
	s_mov_b64 s[40:41], 0
	v_cmp_ne_u32_e64 s[0:1], 1, v2
	v_cmp_ne_u32_e64 s[2:3], 1, v3
	;; [unrolled: 1-line block ×3, first 2 shown]
	s_branch .LBB3_3
.LBB3_2:                                ;   in Loop: Header=BB3_3 Depth=1
	v_mov_b32_e32 v3, s19
	v_add_co_u32_e32 v5, vcc, s18, v6
	v_addc_co_u32_e32 v3, vcc, 0, v3, vcc
	v_mov_b32_e32 v7, s35
	v_add_co_u32_e32 v11, vcc, s34, v4
	v_addc_co_u32_e32 v12, vcc, 0, v7, vcc
	;; [unrolled: 3-line block ×4, first 2 shown]
	global_load_ubyte v13, v[7:8], off
	v_mov_b32_e32 v3, s13
	v_add_co_u32_e32 v7, vcc, s21, v7
	v_addc_co_u32_e32 v8, vcc, v8, v3, vcc
	global_load_ubyte v14, v[9:10], off
	v_mov_b32_e32 v3, s42
	v_add_co_u32_e32 v9, vcc, s22, v11
	v_addc_co_u32_e32 v10, vcc, v12, v3, vcc
	global_load_ubyte v11, v6, s[18:19]
	global_load_ubyte v12, v[9:10], off
	global_load_ubyte v15, v4, s[34:35]
	global_load_ubyte v16, v[7:8], off
	v_add_co_u32_e32 v0, vcc, s45, v0
	v_addc_co_u32_e32 v1, vcc, 0, v1, vcc
	v_mov_b32_e32 v3, s17
	v_add_co_u32_e32 v5, vcc, s16, v2
	v_addc_co_u32_e32 v7, vcc, 0, v3, vcc
	v_mov_b32_e32 v4, s43
	v_cmp_le_i64_e32 vcc, s[28:29], v[0:1]
	v_add_co_u32_e64 v3, s[6:7], s44, v5
	v_addc_co_u32_e64 v4, s[6:7], v7, v4, s[6:7]
	v_mov_b32_e32 v6, s43
	v_add_co_u32_e64 v5, s[6:7], s20, v3
	s_or_b64 s[40:41], vcc, s[40:41]
	v_addc_co_u32_e64 v6, s[6:7], v4, v6, s[6:7]
	s_waitcnt vmcnt(4)
	v_mul_lo_u16_e32 v7, v14, v13
	s_waitcnt vmcnt(3)
	v_mul_lo_u16_e32 v8, v11, v14
	;; [unrolled: 2-line block ×5, first 2 shown]
	v_mul_lo_u16_e32 v12, v15, v16
	v_sub_u16_e32 v7, v7, v11
	v_sub_u16_e32 v9, v9, v10
	v_sub_u16_e32 v8, v12, v8
	global_store_byte v2, v7, s[16:17]
	global_store_byte v[3:4], v8, off
	global_store_byte v[5:6], v9, off
	s_andn2_b64 exec, exec, s[40:41]
	s_cbranch_execz .LBB3_13
.LBB3_3:                                ; =>This Loop Header: Depth=1
                                        ;     Child Loop BB3_6 Depth 2
	s_and_b64 vcc, exec, s[0:1]
	s_mov_b64 s[6:7], -1
                                        ; implicit-def: $vgpr2
                                        ; implicit-def: $vgpr6
                                        ; implicit-def: $vgpr4
	s_cbranch_vccnz .LBB3_10
; %bb.4:                                ;   in Loop: Header=BB3_3 Depth=1
	v_mov_b32_e32 v2, 0
	s_and_b64 vcc, exec, s[2:3]
	v_mov_b32_e32 v6, 0
	v_mov_b32_e32 v4, 0
	s_cbranch_vccnz .LBB3_9
; %bb.5:                                ;   in Loop: Header=BB3_3 Depth=1
	v_mov_b32_e32 v4, 0
	s_mov_b32 s47, s46
	s_mov_b64 s[6:7], s[30:31]
	v_mov_b32_e32 v6, 0
	v_mov_b32_e32 v2, 0
	;; [unrolled: 1-line block ×3, first 2 shown]
.LBB3_6:                                ;   Parent Loop BB3_3 Depth=1
                                        ; =>  This Inner Loop Header: Depth=2
	s_load_dwordx4 s[48:51], s[6:7], 0x1c
	s_load_dwordx2 s[56:57], s[6:7], 0x2c
	s_load_dwordx2 s[58:59], s[6:7], 0xec
	s_load_dwordx4 s[52:55], s[6:7], 0xdc
	s_add_u32 s6, s6, 24
	s_waitcnt lgkmcnt(0)
	v_mul_hi_u32 v5, s49, v3
	s_addc_u32 s7, s7, 0
	s_add_i32 s47, s47, -2
	s_cmp_lg_u32 s47, 0
	v_add_u32_e32 v5, v3, v5
	v_lshrrev_b32_e32 v5, s50, v5
	v_mul_lo_u32 v7, v5, s48
	v_mul_hi_u32 v8, s56, v5
	v_sub_u32_e32 v7, v3, v7
	v_add_u32_e32 v3, v5, v8
	v_lshrrev_b32_e32 v3, s57, v3
	v_mul_lo_u32 v10, v3, s51
	v_mul_lo_u32 v8, v7, s52
	;; [unrolled: 1-line block ×4, first 2 shown]
	v_sub_u32_e32 v5, v5, v10
	v_mul_lo_u32 v10, v5, s55
	v_mul_lo_u32 v11, v5, s58
	;; [unrolled: 1-line block ×3, first 2 shown]
	v_add3_u32 v2, v8, v2, v10
	v_add3_u32 v6, v9, v6, v11
	;; [unrolled: 1-line block ×3, first 2 shown]
	s_cbranch_scc1 .LBB3_6
; %bb.7:                                ;   in Loop: Header=BB3_3 Depth=1
	s_and_b64 vcc, exec, s[4:5]
	s_cbranch_vccnz .LBB3_9
; %bb.8:                                ;   in Loop: Header=BB3_3 Depth=1
	s_load_dwordx2 s[48:49], s[6:7], 0x1c
	s_load_dword s47, s[6:7], 0x24
	s_load_dwordx2 s[50:51], s[6:7], 0xdc
	s_waitcnt lgkmcnt(0)
	v_mul_hi_u32 v5, s49, v3
	v_add_u32_e32 v5, v3, v5
	v_lshrrev_b32_e32 v5, s47, v5
	v_mul_lo_u32 v5, v5, s48
	s_load_dword s47, s[6:7], 0xe4
	v_sub_u32_e32 v5, v3, v5
	v_mad_u64_u32 v[2:3], s[6:7], v5, s50, v[2:3]
	v_mad_u64_u32 v[6:7], s[6:7], v5, s51, v[6:7]
	s_waitcnt lgkmcnt(0)
	v_mad_u64_u32 v[4:5], s[6:7], v5, s47, v[4:5]
.LBB3_9:                                ;   in Loop: Header=BB3_3 Depth=1
	s_mov_b64 s[6:7], 0
.LBB3_10:                               ;   in Loop: Header=BB3_3 Depth=1
	s_andn2_b64 vcc, exec, s[6:7]
	s_cbranch_vccnz .LBB3_2
; %bb.11:                               ;   in Loop: Header=BB3_3 Depth=1
	v_mul_lo_u32 v2, v1, s10
	v_mul_hi_u32 v3, v0, s10
	s_andn2_b64 vcc, exec, s[38:39]
	v_add3_u32 v2, v3, v2, v0
	v_lshrrev_b32_e32 v3, s11, v2
	v_mul_lo_u32 v2, v3, s9
	v_sub_u32_e32 v4, v0, v2
	s_waitcnt lgkmcnt(0)
	v_mul_lo_u32 v2, v4, s24
	v_mul_lo_u32 v6, v4, s25
	;; [unrolled: 1-line block ×3, first 2 shown]
	s_cbranch_vccnz .LBB3_2
; %bb.12:                               ;   in Loop: Header=BB3_3 Depth=1
	v_mul_hi_u32 v5, s8, v3
	v_add_u32_e32 v5, v3, v5
	v_lshrrev_b32_e32 v5, s14, v5
	v_mul_lo_u32 v5, v5, s12
	v_sub_u32_e32 v5, v3, v5
	v_mad_u64_u32 v[2:3], s[6:7], v5, s27, v[2:3]
	v_mad_u64_u32 v[6:7], s[6:7], v5, s36, v[6:7]
	;; [unrolled: 1-line block ×3, first 2 shown]
	s_branch .LBB3_2
.LBB3_13:
	s_endpgm
	.section	.rodata,"a",@progbits
	.p2align	6, 0x0
	.amdhsa_kernel _ZN2at6native12cross_kernelIa16OffsetCalculatorILi3EjLb0EEiEEviPT_PKS4_S7_T0_T1_S9_S9_
		.amdhsa_group_segment_fixed_size 0
		.amdhsa_private_segment_fixed_size 0
		.amdhsa_kernarg_size 688
		.amdhsa_user_sgpr_count 6
		.amdhsa_user_sgpr_private_segment_buffer 1
		.amdhsa_user_sgpr_dispatch_ptr 0
		.amdhsa_user_sgpr_queue_ptr 0
		.amdhsa_user_sgpr_kernarg_segment_ptr 1
		.amdhsa_user_sgpr_dispatch_id 0
		.amdhsa_user_sgpr_flat_scratch_init 0
		.amdhsa_user_sgpr_private_segment_size 0
		.amdhsa_uses_dynamic_stack 0
		.amdhsa_system_sgpr_private_segment_wavefront_offset 0
		.amdhsa_system_sgpr_workgroup_id_x 1
		.amdhsa_system_sgpr_workgroup_id_y 0
		.amdhsa_system_sgpr_workgroup_id_z 0
		.amdhsa_system_sgpr_workgroup_info 0
		.amdhsa_system_vgpr_workitem_id 0
		.amdhsa_next_free_vgpr 17
		.amdhsa_next_free_sgpr 60
		.amdhsa_reserve_vcc 1
		.amdhsa_reserve_flat_scratch 0
		.amdhsa_float_round_mode_32 0
		.amdhsa_float_round_mode_16_64 0
		.amdhsa_float_denorm_mode_32 3
		.amdhsa_float_denorm_mode_16_64 3
		.amdhsa_dx10_clamp 1
		.amdhsa_ieee_mode 1
		.amdhsa_fp16_overflow 0
		.amdhsa_exception_fp_ieee_invalid_op 0
		.amdhsa_exception_fp_denorm_src 0
		.amdhsa_exception_fp_ieee_div_zero 0
		.amdhsa_exception_fp_ieee_overflow 0
		.amdhsa_exception_fp_ieee_underflow 0
		.amdhsa_exception_fp_ieee_inexact 0
		.amdhsa_exception_int_div_zero 0
	.end_amdhsa_kernel
	.section	.text._ZN2at6native12cross_kernelIa16OffsetCalculatorILi3EjLb0EEiEEviPT_PKS4_S7_T0_T1_S9_S9_,"axG",@progbits,_ZN2at6native12cross_kernelIa16OffsetCalculatorILi3EjLb0EEiEEviPT_PKS4_S7_T0_T1_S9_S9_,comdat
.Lfunc_end3:
	.size	_ZN2at6native12cross_kernelIa16OffsetCalculatorILi3EjLb0EEiEEviPT_PKS4_S7_T0_T1_S9_S9_, .Lfunc_end3-_ZN2at6native12cross_kernelIa16OffsetCalculatorILi3EjLb0EEiEEviPT_PKS4_S7_T0_T1_S9_S9_
                                        ; -- End function
	.set _ZN2at6native12cross_kernelIa16OffsetCalculatorILi3EjLb0EEiEEviPT_PKS4_S7_T0_T1_S9_S9_.num_vgpr, 17
	.set _ZN2at6native12cross_kernelIa16OffsetCalculatorILi3EjLb0EEiEEviPT_PKS4_S7_T0_T1_S9_S9_.num_agpr, 0
	.set _ZN2at6native12cross_kernelIa16OffsetCalculatorILi3EjLb0EEiEEviPT_PKS4_S7_T0_T1_S9_S9_.numbered_sgpr, 60
	.set _ZN2at6native12cross_kernelIa16OffsetCalculatorILi3EjLb0EEiEEviPT_PKS4_S7_T0_T1_S9_S9_.num_named_barrier, 0
	.set _ZN2at6native12cross_kernelIa16OffsetCalculatorILi3EjLb0EEiEEviPT_PKS4_S7_T0_T1_S9_S9_.private_seg_size, 0
	.set _ZN2at6native12cross_kernelIa16OffsetCalculatorILi3EjLb0EEiEEviPT_PKS4_S7_T0_T1_S9_S9_.uses_vcc, 1
	.set _ZN2at6native12cross_kernelIa16OffsetCalculatorILi3EjLb0EEiEEviPT_PKS4_S7_T0_T1_S9_S9_.uses_flat_scratch, 0
	.set _ZN2at6native12cross_kernelIa16OffsetCalculatorILi3EjLb0EEiEEviPT_PKS4_S7_T0_T1_S9_S9_.has_dyn_sized_stack, 0
	.set _ZN2at6native12cross_kernelIa16OffsetCalculatorILi3EjLb0EEiEEviPT_PKS4_S7_T0_T1_S9_S9_.has_recursion, 0
	.set _ZN2at6native12cross_kernelIa16OffsetCalculatorILi3EjLb0EEiEEviPT_PKS4_S7_T0_T1_S9_S9_.has_indirect_call, 0
	.section	.AMDGPU.csdata,"",@progbits
; Kernel info:
; codeLenInByte = 1044
; TotalNumSgprs: 64
; NumVgprs: 17
; ScratchSize: 0
; MemoryBound: 0
; FloatMode: 240
; IeeeMode: 1
; LDSByteSize: 0 bytes/workgroup (compile time only)
; SGPRBlocks: 7
; VGPRBlocks: 4
; NumSGPRsForWavesPerEU: 64
; NumVGPRsForWavesPerEU: 17
; Occupancy: 10
; WaveLimiterHint : 1
; COMPUTE_PGM_RSRC2:SCRATCH_EN: 0
; COMPUTE_PGM_RSRC2:USER_SGPR: 6
; COMPUTE_PGM_RSRC2:TRAP_HANDLER: 0
; COMPUTE_PGM_RSRC2:TGID_X_EN: 1
; COMPUTE_PGM_RSRC2:TGID_Y_EN: 0
; COMPUTE_PGM_RSRC2:TGID_Z_EN: 0
; COMPUTE_PGM_RSRC2:TIDIG_COMP_CNT: 0
	.section	.text._ZN2at6native12cross_kernelIi16OffsetCalculatorILi3EjLb0EElEEviPT_PKS4_S7_T0_T1_S9_S9_,"axG",@progbits,_ZN2at6native12cross_kernelIi16OffsetCalculatorILi3EjLb0EElEEviPT_PKS4_S7_T0_T1_S9_S9_,comdat
	.protected	_ZN2at6native12cross_kernelIi16OffsetCalculatorILi3EjLb0EElEEviPT_PKS4_S7_T0_T1_S9_S9_ ; -- Begin function _ZN2at6native12cross_kernelIi16OffsetCalculatorILi3EjLb0EElEEviPT_PKS4_S7_T0_T1_S9_S9_
	.globl	_ZN2at6native12cross_kernelIi16OffsetCalculatorILi3EjLb0EElEEviPT_PKS4_S7_T0_T1_S9_S9_
	.p2align	8
	.type	_ZN2at6native12cross_kernelIi16OffsetCalculatorILi3EjLb0EElEEviPT_PKS4_S7_T0_T1_S9_S9_,@function
_ZN2at6native12cross_kernelIi16OffsetCalculatorILi3EjLb0EElEEviPT_PKS4_S7_T0_T1_S9_S9_: ; @_ZN2at6native12cross_kernelIi16OffsetCalculatorILi3EjLb0EElEEviPT_PKS4_S7_T0_T1_S9_S9_
; %bb.0:
	s_load_dword s24, s[4:5], 0x0
	s_load_dword s2, s[4:5], 0x1cc
	v_mov_b32_e32 v1, 0
	v_mov_b32_e32 v2, s6
	s_waitcnt lgkmcnt(0)
	s_ashr_i32 s25, s24, 31
	s_add_u32 s0, s4, 0x1c0
	s_addc_u32 s1, s5, 0
	s_and_b32 s2, s2, 0xffff
	v_mad_u64_u32 v[2:3], s[6:7], s2, v2, v[0:1]
	v_cmp_gt_i64_e32 vcc, s[24:25], v[2:3]
	s_and_saveexec_b64 s[6:7], vcc
	s_cbranch_execz .LBB4_13
; %bb.1:
	s_load_dwordx4 s[16:19], s[4:5], 0x8
	s_load_dwordx2 s[28:29], s[4:5], 0x18
	s_load_dwordx8 s[8:15], s[4:5], 0x20
	s_load_dwordx2 s[6:7], s[4:5], 0x1b8
	s_load_dwordx4 s[48:51], s[4:5], 0x1a8
	s_load_dword s3, s[0:1], 0x0
	s_add_u32 s26, s4, 8
	s_waitcnt lgkmcnt(0)
	v_sub_co_u32_e64 v0, s[0:1], s8, 1
	v_readfirstlane_b32 s15, v0
	s_addc_u32 s27, s5, 0
	s_xor_b64 s[0:1], s[0:1], -1
	s_min_u32 s33, s15, 15
	s_cmp_gt_u32 s8, 1
	s_cselect_b64 s[34:35], -1, 0
	s_mov_b32 s8, s13
	s_mul_i32 s13, s3, s2
	s_add_i32 s2, s33, 1
	s_load_dwordx4 s[20:23], s[4:5], 0xe4
	s_load_dwordx2 s[30:31], s[4:5], 0xf4
	s_lshl_b64 s[36:37], s[6:7], 3
	s_and_b32 s15, s2, 30
	s_bitcmp0_b32 s33, 0
	s_cselect_b64 s[2:3], -1, 0
	s_lshl_b64 s[38:39], s[50:51], 2
	s_lshl_b64 s[4:5], s[6:7], 2
	v_cmp_lt_u32_e32 vcc, 1, v0
	s_sub_u32 s33, 0, s4
	v_cndmask_b32_e64 v0, 0, 1, vcc
	v_cndmask_b32_e64 v4, 0, 1, s[0:1]
	v_cndmask_b32_e64 v5, 0, 1, s[2:3]
	s_mov_b64 s[40:41], 0
	s_subb_u32 s44, 0, s5
	s_lshl_b64 s[42:43], s[48:49], 2
	v_cmp_ne_u32_e64 s[0:1], 1, v0
	v_cmp_ne_u32_e64 s[2:3], 1, v4
	;; [unrolled: 1-line block ×3, first 2 shown]
	s_branch .LBB4_3
.LBB4_2:                                ;   in Loop: Header=BB4_3 Depth=1
	v_mov_b32_e32 v7, v1
	v_lshlrev_b64 v[5:6], 2, v[6:7]
	v_mov_b32_e32 v8, s19
	v_add_co_u32_e32 v7, vcc, s18, v5
	v_mov_b32_e32 v5, v1
	v_lshlrev_b64 v[4:5], 2, v[4:5]
	v_addc_co_u32_e32 v8, vcc, v8, v6, vcc
	v_mov_b32_e32 v6, s29
	v_add_co_u32_e32 v4, vcc, s28, v4
	v_addc_co_u32_e32 v5, vcc, v6, v5, vcc
	v_mov_b32_e32 v6, s39
	v_add_co_u32_e32 v9, vcc, s38, v7
	;; [unrolled: 3-line block ×3, first 2 shown]
	v_addc_co_u32_e32 v12, vcc, v5, v12, vcc
	global_load_dword v13, v[9:10], off
	v_add_co_u32_e32 v9, vcc, s38, v9
	v_addc_co_u32_e32 v10, vcc, v10, v6, vcc
	global_load_dword v15, v[9:10], off
	v_mov_b32_e32 v6, s44
	v_add_co_u32_e32 v9, vcc, s33, v11
	global_load_dword v14, v[11:12], off
	v_addc_co_u32_e32 v10, vcc, v12, v6, vcc
	global_load_dword v11, v[7:8], off
	global_load_dword v12, v[4:5], off
	;; [unrolled: 1-line block ×3, first 2 shown]
	v_lshlrev_b64 v[4:5], 2, v[0:1]
	v_mov_b32_e32 v0, s17
	v_add_co_u32_e64 v4, s[6:7], s16, v4
	v_add_co_u32_e32 v2, vcc, s13, v2
	v_addc_co_u32_e64 v5, s[6:7], v0, v5, s[6:7]
	v_addc_co_u32_e32 v3, vcc, 0, v3, vcc
	v_cmp_le_i64_e32 vcc, s[24:25], v[2:3]
	v_mov_b32_e32 v9, s43
	v_add_co_u32_e64 v6, s[6:7], s42, v4
	v_addc_co_u32_e64 v7, s[6:7], v5, v9, s[6:7]
	s_or_b64 s[40:41], vcc, s[40:41]
	v_add_co_u32_e32 v8, vcc, s42, v6
	v_addc_co_u32_e32 v9, vcc, v7, v9, vcc
	s_waitcnt vmcnt(3)
	v_mul_lo_u32 v0, v14, v13
	s_waitcnt vmcnt(2)
	v_mul_lo_u32 v10, v11, v14
	;; [unrolled: 2-line block ×4, first 2 shown]
	v_mul_lo_u32 v12, v12, v15
	v_mul_lo_u32 v11, v11, v16
	v_sub_u32_e32 v0, v0, v14
	v_sub_u32_e32 v10, v12, v10
	;; [unrolled: 1-line block ×3, first 2 shown]
	global_store_dword v[4:5], v0, off
	global_store_dword v[6:7], v10, off
	;; [unrolled: 1-line block ×3, first 2 shown]
	s_andn2_b64 exec, exec, s[40:41]
	s_cbranch_execz .LBB4_13
.LBB4_3:                                ; =>This Loop Header: Depth=1
                                        ;     Child Loop BB4_6 Depth 2
	s_and_b64 vcc, exec, s[0:1]
	s_mov_b64 s[6:7], -1
                                        ; implicit-def: $vgpr6
                                        ; implicit-def: $vgpr4
	s_cbranch_vccnz .LBB4_10
; %bb.4:                                ;   in Loop: Header=BB4_3 Depth=1
	v_mov_b32_e32 v0, 0
	s_and_b64 vcc, exec, s[2:3]
	v_mov_b32_e32 v6, 0
	v_mov_b32_e32 v4, 0
	s_cbranch_vccnz .LBB4_9
; %bb.5:                                ;   in Loop: Header=BB4_3 Depth=1
	v_mov_b32_e32 v4, 0
	s_mov_b32 s45, s15
	s_mov_b64 s[6:7], s[26:27]
	v_mov_b32_e32 v6, 0
	v_mov_b32_e32 v0, v4
	;; [unrolled: 1-line block ×3, first 2 shown]
.LBB4_6:                                ;   Parent Loop BB4_3 Depth=1
                                        ; =>  This Inner Loop Header: Depth=2
	s_load_dwordx4 s[48:51], s[6:7], 0x1c
	s_load_dwordx2 s[46:47], s[6:7], 0x2c
	s_load_dwordx2 s[56:57], s[6:7], 0xec
	s_load_dwordx4 s[52:55], s[6:7], 0xdc
	s_add_u32 s6, s6, 24
	s_waitcnt lgkmcnt(0)
	v_mul_hi_u32 v7, s49, v5
	s_addc_u32 s7, s7, 0
	s_add_i32 s45, s45, -2
	s_cmp_lg_u32 s45, 0
	v_add_u32_e32 v7, v5, v7
	v_lshrrev_b32_e32 v7, s50, v7
	v_mul_lo_u32 v8, v7, s48
	v_mul_hi_u32 v9, s46, v7
	v_sub_u32_e32 v8, v5, v8
	v_add_u32_e32 v5, v7, v9
	v_lshrrev_b32_e32 v5, s47, v5
	v_mul_lo_u32 v11, v5, s51
	v_mul_lo_u32 v9, v8, s52
	;; [unrolled: 1-line block ×4, first 2 shown]
	v_sub_u32_e32 v7, v7, v11
	v_mul_lo_u32 v11, v7, s55
	v_mul_lo_u32 v12, v7, s56
	;; [unrolled: 1-line block ×3, first 2 shown]
	v_add3_u32 v0, v9, v0, v11
	v_add3_u32 v6, v10, v6, v12
	;; [unrolled: 1-line block ×3, first 2 shown]
	s_cbranch_scc1 .LBB4_6
; %bb.7:                                ;   in Loop: Header=BB4_3 Depth=1
	s_and_b64 vcc, exec, s[4:5]
	s_cbranch_vccnz .LBB4_9
; %bb.8:                                ;   in Loop: Header=BB4_3 Depth=1
	s_load_dwordx2 s[46:47], s[6:7], 0x1c
	s_load_dword s45, s[6:7], 0x24
	s_load_dwordx2 s[48:49], s[6:7], 0xdc
	s_waitcnt lgkmcnt(0)
	v_mul_hi_u32 v7, s47, v5
	v_add_u32_e32 v7, v5, v7
	v_lshrrev_b32_e32 v7, s45, v7
	v_mul_lo_u32 v7, v7, s46
	s_load_dword s45, s[6:7], 0xe4
	v_sub_u32_e32 v5, v5, v7
	v_mad_u64_u32 v[8:9], s[6:7], v5, s48, v[0:1]
	v_mad_u64_u32 v[6:7], s[6:7], v5, s49, v[6:7]
	s_waitcnt lgkmcnt(0)
	v_mad_u64_u32 v[4:5], s[6:7], v5, s45, v[4:5]
	v_mov_b32_e32 v0, v8
.LBB4_9:                                ;   in Loop: Header=BB4_3 Depth=1
	s_mov_b64 s[6:7], 0
.LBB4_10:                               ;   in Loop: Header=BB4_3 Depth=1
	s_andn2_b64 vcc, exec, s[6:7]
	s_cbranch_vccnz .LBB4_2
; %bb.11:                               ;   in Loop: Header=BB4_3 Depth=1
	v_mul_lo_u32 v0, v3, s10
	v_mul_hi_u32 v4, v2, s10
	s_andn2_b64 vcc, exec, s[34:35]
	v_add3_u32 v0, v4, v0, v2
	v_lshrrev_b32_e32 v5, s11, v0
	v_mul_lo_u32 v0, v5, s9
	v_sub_u32_e32 v4, v2, v0
	s_waitcnt lgkmcnt(0)
	v_mul_lo_u32 v0, v4, s20
	v_mul_lo_u32 v6, v4, s21
	;; [unrolled: 1-line block ×3, first 2 shown]
	s_cbranch_vccnz .LBB4_2
; %bb.12:                               ;   in Loop: Header=BB4_3 Depth=1
	v_mul_hi_u32 v7, s8, v5
	v_add_u32_e32 v7, v5, v7
	v_lshrrev_b32_e32 v7, s14, v7
	v_mul_lo_u32 v7, v7, s12
	v_sub_u32_e32 v5, v5, v7
	v_mad_u64_u32 v[8:9], s[6:7], v5, s23, v[0:1]
	v_mad_u64_u32 v[6:7], s[6:7], v5, s30, v[6:7]
	;; [unrolled: 1-line block ×3, first 2 shown]
	v_mov_b32_e32 v0, v8
	s_branch .LBB4_2
.LBB4_13:
	s_endpgm
	.section	.rodata,"a",@progbits
	.p2align	6, 0x0
	.amdhsa_kernel _ZN2at6native12cross_kernelIi16OffsetCalculatorILi3EjLb0EElEEviPT_PKS4_S7_T0_T1_S9_S9_
		.amdhsa_group_segment_fixed_size 0
		.amdhsa_private_segment_fixed_size 0
		.amdhsa_kernarg_size 704
		.amdhsa_user_sgpr_count 6
		.amdhsa_user_sgpr_private_segment_buffer 1
		.amdhsa_user_sgpr_dispatch_ptr 0
		.amdhsa_user_sgpr_queue_ptr 0
		.amdhsa_user_sgpr_kernarg_segment_ptr 1
		.amdhsa_user_sgpr_dispatch_id 0
		.amdhsa_user_sgpr_flat_scratch_init 0
		.amdhsa_user_sgpr_private_segment_size 0
		.amdhsa_uses_dynamic_stack 0
		.amdhsa_system_sgpr_private_segment_wavefront_offset 0
		.amdhsa_system_sgpr_workgroup_id_x 1
		.amdhsa_system_sgpr_workgroup_id_y 0
		.amdhsa_system_sgpr_workgroup_id_z 0
		.amdhsa_system_sgpr_workgroup_info 0
		.amdhsa_system_vgpr_workitem_id 0
		.amdhsa_next_free_vgpr 17
		.amdhsa_next_free_sgpr 58
		.amdhsa_reserve_vcc 1
		.amdhsa_reserve_flat_scratch 0
		.amdhsa_float_round_mode_32 0
		.amdhsa_float_round_mode_16_64 0
		.amdhsa_float_denorm_mode_32 3
		.amdhsa_float_denorm_mode_16_64 3
		.amdhsa_dx10_clamp 1
		.amdhsa_ieee_mode 1
		.amdhsa_fp16_overflow 0
		.amdhsa_exception_fp_ieee_invalid_op 0
		.amdhsa_exception_fp_denorm_src 0
		.amdhsa_exception_fp_ieee_div_zero 0
		.amdhsa_exception_fp_ieee_overflow 0
		.amdhsa_exception_fp_ieee_underflow 0
		.amdhsa_exception_fp_ieee_inexact 0
		.amdhsa_exception_int_div_zero 0
	.end_amdhsa_kernel
	.section	.text._ZN2at6native12cross_kernelIi16OffsetCalculatorILi3EjLb0EElEEviPT_PKS4_S7_T0_T1_S9_S9_,"axG",@progbits,_ZN2at6native12cross_kernelIi16OffsetCalculatorILi3EjLb0EElEEviPT_PKS4_S7_T0_T1_S9_S9_,comdat
.Lfunc_end4:
	.size	_ZN2at6native12cross_kernelIi16OffsetCalculatorILi3EjLb0EElEEviPT_PKS4_S7_T0_T1_S9_S9_, .Lfunc_end4-_ZN2at6native12cross_kernelIi16OffsetCalculatorILi3EjLb0EElEEviPT_PKS4_S7_T0_T1_S9_S9_
                                        ; -- End function
	.set _ZN2at6native12cross_kernelIi16OffsetCalculatorILi3EjLb0EElEEviPT_PKS4_S7_T0_T1_S9_S9_.num_vgpr, 17
	.set _ZN2at6native12cross_kernelIi16OffsetCalculatorILi3EjLb0EElEEviPT_PKS4_S7_T0_T1_S9_S9_.num_agpr, 0
	.set _ZN2at6native12cross_kernelIi16OffsetCalculatorILi3EjLb0EElEEviPT_PKS4_S7_T0_T1_S9_S9_.numbered_sgpr, 58
	.set _ZN2at6native12cross_kernelIi16OffsetCalculatorILi3EjLb0EElEEviPT_PKS4_S7_T0_T1_S9_S9_.num_named_barrier, 0
	.set _ZN2at6native12cross_kernelIi16OffsetCalculatorILi3EjLb0EElEEviPT_PKS4_S7_T0_T1_S9_S9_.private_seg_size, 0
	.set _ZN2at6native12cross_kernelIi16OffsetCalculatorILi3EjLb0EElEEviPT_PKS4_S7_T0_T1_S9_S9_.uses_vcc, 1
	.set _ZN2at6native12cross_kernelIi16OffsetCalculatorILi3EjLb0EElEEviPT_PKS4_S7_T0_T1_S9_S9_.uses_flat_scratch, 0
	.set _ZN2at6native12cross_kernelIi16OffsetCalculatorILi3EjLb0EElEEviPT_PKS4_S7_T0_T1_S9_S9_.has_dyn_sized_stack, 0
	.set _ZN2at6native12cross_kernelIi16OffsetCalculatorILi3EjLb0EElEEviPT_PKS4_S7_T0_T1_S9_S9_.has_recursion, 0
	.set _ZN2at6native12cross_kernelIi16OffsetCalculatorILi3EjLb0EElEEviPT_PKS4_S7_T0_T1_S9_S9_.has_indirect_call, 0
	.section	.AMDGPU.csdata,"",@progbits
; Kernel info:
; codeLenInByte = 1100
; TotalNumSgprs: 62
; NumVgprs: 17
; ScratchSize: 0
; MemoryBound: 0
; FloatMode: 240
; IeeeMode: 1
; LDSByteSize: 0 bytes/workgroup (compile time only)
; SGPRBlocks: 7
; VGPRBlocks: 4
; NumSGPRsForWavesPerEU: 62
; NumVGPRsForWavesPerEU: 17
; Occupancy: 10
; WaveLimiterHint : 1
; COMPUTE_PGM_RSRC2:SCRATCH_EN: 0
; COMPUTE_PGM_RSRC2:USER_SGPR: 6
; COMPUTE_PGM_RSRC2:TRAP_HANDLER: 0
; COMPUTE_PGM_RSRC2:TGID_X_EN: 1
; COMPUTE_PGM_RSRC2:TGID_Y_EN: 0
; COMPUTE_PGM_RSRC2:TGID_Z_EN: 0
; COMPUTE_PGM_RSRC2:TIDIG_COMP_CNT: 0
	.section	.text._ZN2at6native12cross_kernelIi16OffsetCalculatorILi3EjLb0EEiEEviPT_PKS4_S7_T0_T1_S9_S9_,"axG",@progbits,_ZN2at6native12cross_kernelIi16OffsetCalculatorILi3EjLb0EEiEEviPT_PKS4_S7_T0_T1_S9_S9_,comdat
	.protected	_ZN2at6native12cross_kernelIi16OffsetCalculatorILi3EjLb0EEiEEviPT_PKS4_S7_T0_T1_S9_S9_ ; -- Begin function _ZN2at6native12cross_kernelIi16OffsetCalculatorILi3EjLb0EEiEEviPT_PKS4_S7_T0_T1_S9_S9_
	.globl	_ZN2at6native12cross_kernelIi16OffsetCalculatorILi3EjLb0EEiEEviPT_PKS4_S7_T0_T1_S9_S9_
	.p2align	8
	.type	_ZN2at6native12cross_kernelIi16OffsetCalculatorILi3EjLb0EEiEEviPT_PKS4_S7_T0_T1_S9_S9_,@function
_ZN2at6native12cross_kernelIi16OffsetCalculatorILi3EjLb0EEiEEviPT_PKS4_S7_T0_T1_S9_S9_: ; @_ZN2at6native12cross_kernelIi16OffsetCalculatorILi3EjLb0EEiEEviPT_PKS4_S7_T0_T1_S9_S9_
; %bb.0:
	s_load_dword s24, s[4:5], 0x0
	s_load_dword s2, s[4:5], 0x1bc
	v_mov_b32_e32 v1, 0
	v_mov_b32_e32 v2, s6
	s_waitcnt lgkmcnt(0)
	s_ashr_i32 s25, s24, 31
	s_add_u32 s0, s4, 0x1b0
	s_addc_u32 s1, s5, 0
	s_and_b32 s2, s2, 0xffff
	v_mad_u64_u32 v[2:3], s[6:7], s2, v2, v[0:1]
	v_cmp_gt_i64_e32 vcc, s[24:25], v[2:3]
	s_and_saveexec_b64 s[6:7], vcc
	s_cbranch_execz .LBB5_13
; %bb.1:
	s_load_dwordx8 s[8:15], s[4:5], 0x20
	s_load_dwordx4 s[16:19], s[4:5], 0x8
	s_load_dwordx2 s[28:29], s[4:5], 0x18
	s_load_dwordx4 s[40:43], s[4:5], 0x1a4
	s_load_dword s3, s[0:1], 0x0
	s_waitcnt lgkmcnt(0)
	v_sub_co_u32_e64 v0, s[0:1], s8, 1
	s_add_u32 s26, s4, 8
	v_readfirstlane_b32 s6, v0
	s_addc_u32 s27, s5, 0
	s_xor_b64 s[0:1], s[0:1], -1
	s_min_u32 s33, s6, 15
	s_cmp_gt_u32 s8, 1
	s_cselect_b64 s[34:35], -1, 0
	s_mov_b32 s8, s13
	s_lshl_b32 s6, s42, 1
	s_mul_i32 s13, s3, s2
	s_add_i32 s2, s33, 1
	s_load_dwordx4 s[20:23], s[4:5], 0xe4
	s_load_dwordx2 s[30:31], s[4:5], 0xf4
	s_ashr_i32 s5, s41, 31
	s_mov_b32 s4, s41
	s_ashr_i32 s7, s6, 31
	s_ashr_i32 s41, s40, 31
	s_and_b32 s15, s2, 30
	s_bitcmp0_b32 s33, 0
	s_cselect_b64 s[2:3], -1, 0
	s_ashr_i32 s43, s42, 31
	s_lshl_b64 s[36:37], s[4:5], 2
	s_lshl_b64 s[4:5], s[42:43], 2
	v_cmp_lt_u32_e32 vcc, 1, v0
	s_sub_u32 s33, 0, s4
	v_cndmask_b32_e64 v0, 0, 1, vcc
	v_cndmask_b32_e64 v4, 0, 1, s[0:1]
	v_cndmask_b32_e64 v5, 0, 1, s[2:3]
	s_mov_b64 s[38:39], 0
	s_subb_u32 s44, 0, s5
	s_lshl_b64 s[40:41], s[40:41], 2
	s_lshl_b64 s[42:43], s[6:7], 2
	v_cmp_ne_u32_e64 s[0:1], 1, v0
	v_cmp_ne_u32_e64 s[2:3], 1, v4
	;; [unrolled: 1-line block ×3, first 2 shown]
	s_branch .LBB5_3
.LBB5_2:                                ;   in Loop: Header=BB5_3 Depth=1
	v_mov_b32_e32 v7, v1
	v_lshlrev_b64 v[5:6], 2, v[6:7]
	v_mov_b32_e32 v8, s19
	v_add_co_u32_e32 v7, vcc, s18, v5
	v_mov_b32_e32 v5, v1
	v_lshlrev_b64 v[4:5], 2, v[4:5]
	v_addc_co_u32_e32 v8, vcc, v8, v6, vcc
	v_mov_b32_e32 v6, s29
	v_add_co_u32_e32 v4, vcc, s28, v4
	v_addc_co_u32_e32 v5, vcc, v6, v5, vcc
	v_mov_b32_e32 v6, s37
	v_add_co_u32_e32 v9, vcc, s36, v7
	;; [unrolled: 3-line block ×3, first 2 shown]
	v_addc_co_u32_e32 v12, vcc, v5, v12, vcc
	global_load_dword v13, v[9:10], off
	v_add_co_u32_e32 v9, vcc, s36, v9
	v_addc_co_u32_e32 v10, vcc, v10, v6, vcc
	global_load_dword v15, v[9:10], off
	v_mov_b32_e32 v6, s44
	v_add_co_u32_e32 v9, vcc, s33, v11
	global_load_dword v14, v[11:12], off
	v_addc_co_u32_e32 v10, vcc, v12, v6, vcc
	global_load_dword v11, v[7:8], off
	global_load_dword v12, v[4:5], off
	;; [unrolled: 1-line block ×3, first 2 shown]
	v_lshlrev_b64 v[4:5], 2, v[0:1]
	v_mov_b32_e32 v0, s17
	v_add_co_u32_e64 v4, s[6:7], s16, v4
	v_add_co_u32_e32 v2, vcc, s13, v2
	v_addc_co_u32_e64 v5, s[6:7], v0, v5, s[6:7]
	v_addc_co_u32_e32 v3, vcc, 0, v3, vcc
	v_cmp_le_i64_e32 vcc, s[24:25], v[2:3]
	v_mov_b32_e32 v9, s41
	v_add_co_u32_e64 v6, s[6:7], s40, v4
	v_addc_co_u32_e64 v7, s[6:7], v5, v9, s[6:7]
	s_or_b64 s[38:39], vcc, s[38:39]
	v_add_co_u32_e32 v8, vcc, s40, v6
	v_addc_co_u32_e32 v9, vcc, v7, v9, vcc
	s_waitcnt vmcnt(3)
	v_mul_lo_u32 v0, v14, v13
	s_waitcnt vmcnt(2)
	v_mul_lo_u32 v10, v11, v14
	;; [unrolled: 2-line block ×4, first 2 shown]
	v_mul_lo_u32 v12, v12, v15
	v_mul_lo_u32 v11, v11, v16
	v_sub_u32_e32 v0, v0, v14
	v_sub_u32_e32 v10, v12, v10
	;; [unrolled: 1-line block ×3, first 2 shown]
	global_store_dword v[4:5], v0, off
	global_store_dword v[6:7], v10, off
	global_store_dword v[8:9], v11, off
	s_andn2_b64 exec, exec, s[38:39]
	s_cbranch_execz .LBB5_13
.LBB5_3:                                ; =>This Loop Header: Depth=1
                                        ;     Child Loop BB5_6 Depth 2
	s_and_b64 vcc, exec, s[0:1]
	s_mov_b64 s[6:7], -1
                                        ; implicit-def: $vgpr6
                                        ; implicit-def: $vgpr4
	s_cbranch_vccnz .LBB5_10
; %bb.4:                                ;   in Loop: Header=BB5_3 Depth=1
	v_mov_b32_e32 v0, 0
	s_and_b64 vcc, exec, s[2:3]
	v_mov_b32_e32 v6, 0
	v_mov_b32_e32 v4, 0
	s_cbranch_vccnz .LBB5_9
; %bb.5:                                ;   in Loop: Header=BB5_3 Depth=1
	v_mov_b32_e32 v4, 0
	s_mov_b32 s45, s15
	s_mov_b64 s[6:7], s[26:27]
	v_mov_b32_e32 v6, 0
	v_mov_b32_e32 v0, v4
	;; [unrolled: 1-line block ×3, first 2 shown]
.LBB5_6:                                ;   Parent Loop BB5_3 Depth=1
                                        ; =>  This Inner Loop Header: Depth=2
	s_load_dwordx4 s[48:51], s[6:7], 0x1c
	s_load_dwordx2 s[46:47], s[6:7], 0x2c
	s_load_dwordx2 s[56:57], s[6:7], 0xec
	s_load_dwordx4 s[52:55], s[6:7], 0xdc
	s_add_u32 s6, s6, 24
	s_waitcnt lgkmcnt(0)
	v_mul_hi_u32 v7, s49, v5
	s_addc_u32 s7, s7, 0
	s_add_i32 s45, s45, -2
	s_cmp_lg_u32 s45, 0
	v_add_u32_e32 v7, v5, v7
	v_lshrrev_b32_e32 v7, s50, v7
	v_mul_lo_u32 v8, v7, s48
	v_mul_hi_u32 v9, s46, v7
	v_sub_u32_e32 v8, v5, v8
	v_add_u32_e32 v5, v7, v9
	v_lshrrev_b32_e32 v5, s47, v5
	v_mul_lo_u32 v11, v5, s51
	v_mul_lo_u32 v9, v8, s52
	;; [unrolled: 1-line block ×4, first 2 shown]
	v_sub_u32_e32 v7, v7, v11
	v_mul_lo_u32 v11, v7, s55
	v_mul_lo_u32 v12, v7, s56
	;; [unrolled: 1-line block ×3, first 2 shown]
	v_add3_u32 v0, v9, v0, v11
	v_add3_u32 v6, v10, v6, v12
	;; [unrolled: 1-line block ×3, first 2 shown]
	s_cbranch_scc1 .LBB5_6
; %bb.7:                                ;   in Loop: Header=BB5_3 Depth=1
	s_and_b64 vcc, exec, s[4:5]
	s_cbranch_vccnz .LBB5_9
; %bb.8:                                ;   in Loop: Header=BB5_3 Depth=1
	s_load_dwordx2 s[46:47], s[6:7], 0x1c
	s_load_dword s45, s[6:7], 0x24
	s_load_dwordx2 s[48:49], s[6:7], 0xdc
	s_waitcnt lgkmcnt(0)
	v_mul_hi_u32 v7, s47, v5
	v_add_u32_e32 v7, v5, v7
	v_lshrrev_b32_e32 v7, s45, v7
	v_mul_lo_u32 v7, v7, s46
	s_load_dword s45, s[6:7], 0xe4
	v_sub_u32_e32 v5, v5, v7
	v_mad_u64_u32 v[8:9], s[6:7], v5, s48, v[0:1]
	v_mad_u64_u32 v[6:7], s[6:7], v5, s49, v[6:7]
	s_waitcnt lgkmcnt(0)
	v_mad_u64_u32 v[4:5], s[6:7], v5, s45, v[4:5]
	v_mov_b32_e32 v0, v8
.LBB5_9:                                ;   in Loop: Header=BB5_3 Depth=1
	s_mov_b64 s[6:7], 0
.LBB5_10:                               ;   in Loop: Header=BB5_3 Depth=1
	s_andn2_b64 vcc, exec, s[6:7]
	s_cbranch_vccnz .LBB5_2
; %bb.11:                               ;   in Loop: Header=BB5_3 Depth=1
	v_mul_lo_u32 v0, v3, s10
	v_mul_hi_u32 v4, v2, s10
	s_andn2_b64 vcc, exec, s[34:35]
	v_add3_u32 v0, v4, v0, v2
	v_lshrrev_b32_e32 v5, s11, v0
	v_mul_lo_u32 v0, v5, s9
	v_sub_u32_e32 v4, v2, v0
	s_waitcnt lgkmcnt(0)
	v_mul_lo_u32 v0, v4, s20
	v_mul_lo_u32 v6, v4, s21
	;; [unrolled: 1-line block ×3, first 2 shown]
	s_cbranch_vccnz .LBB5_2
; %bb.12:                               ;   in Loop: Header=BB5_3 Depth=1
	v_mul_hi_u32 v7, s8, v5
	v_add_u32_e32 v7, v5, v7
	v_lshrrev_b32_e32 v7, s14, v7
	v_mul_lo_u32 v7, v7, s12
	v_sub_u32_e32 v5, v5, v7
	v_mad_u64_u32 v[8:9], s[6:7], v5, s23, v[0:1]
	v_mad_u64_u32 v[6:7], s[6:7], v5, s30, v[6:7]
	v_mad_u64_u32 v[4:5], s[6:7], v5, s31, v[4:5]
	v_mov_b32_e32 v0, v8
	s_branch .LBB5_2
.LBB5_13:
	s_endpgm
	.section	.rodata,"a",@progbits
	.p2align	6, 0x0
	.amdhsa_kernel _ZN2at6native12cross_kernelIi16OffsetCalculatorILi3EjLb0EEiEEviPT_PKS4_S7_T0_T1_S9_S9_
		.amdhsa_group_segment_fixed_size 0
		.amdhsa_private_segment_fixed_size 0
		.amdhsa_kernarg_size 688
		.amdhsa_user_sgpr_count 6
		.amdhsa_user_sgpr_private_segment_buffer 1
		.amdhsa_user_sgpr_dispatch_ptr 0
		.amdhsa_user_sgpr_queue_ptr 0
		.amdhsa_user_sgpr_kernarg_segment_ptr 1
		.amdhsa_user_sgpr_dispatch_id 0
		.amdhsa_user_sgpr_flat_scratch_init 0
		.amdhsa_user_sgpr_private_segment_size 0
		.amdhsa_uses_dynamic_stack 0
		.amdhsa_system_sgpr_private_segment_wavefront_offset 0
		.amdhsa_system_sgpr_workgroup_id_x 1
		.amdhsa_system_sgpr_workgroup_id_y 0
		.amdhsa_system_sgpr_workgroup_id_z 0
		.amdhsa_system_sgpr_workgroup_info 0
		.amdhsa_system_vgpr_workitem_id 0
		.amdhsa_next_free_vgpr 17
		.amdhsa_next_free_sgpr 58
		.amdhsa_reserve_vcc 1
		.amdhsa_reserve_flat_scratch 0
		.amdhsa_float_round_mode_32 0
		.amdhsa_float_round_mode_16_64 0
		.amdhsa_float_denorm_mode_32 3
		.amdhsa_float_denorm_mode_16_64 3
		.amdhsa_dx10_clamp 1
		.amdhsa_ieee_mode 1
		.amdhsa_fp16_overflow 0
		.amdhsa_exception_fp_ieee_invalid_op 0
		.amdhsa_exception_fp_denorm_src 0
		.amdhsa_exception_fp_ieee_div_zero 0
		.amdhsa_exception_fp_ieee_overflow 0
		.amdhsa_exception_fp_ieee_underflow 0
		.amdhsa_exception_fp_ieee_inexact 0
		.amdhsa_exception_int_div_zero 0
	.end_amdhsa_kernel
	.section	.text._ZN2at6native12cross_kernelIi16OffsetCalculatorILi3EjLb0EEiEEviPT_PKS4_S7_T0_T1_S9_S9_,"axG",@progbits,_ZN2at6native12cross_kernelIi16OffsetCalculatorILi3EjLb0EEiEEviPT_PKS4_S7_T0_T1_S9_S9_,comdat
.Lfunc_end5:
	.size	_ZN2at6native12cross_kernelIi16OffsetCalculatorILi3EjLb0EEiEEviPT_PKS4_S7_T0_T1_S9_S9_, .Lfunc_end5-_ZN2at6native12cross_kernelIi16OffsetCalculatorILi3EjLb0EEiEEviPT_PKS4_S7_T0_T1_S9_S9_
                                        ; -- End function
	.set _ZN2at6native12cross_kernelIi16OffsetCalculatorILi3EjLb0EEiEEviPT_PKS4_S7_T0_T1_S9_S9_.num_vgpr, 17
	.set _ZN2at6native12cross_kernelIi16OffsetCalculatorILi3EjLb0EEiEEviPT_PKS4_S7_T0_T1_S9_S9_.num_agpr, 0
	.set _ZN2at6native12cross_kernelIi16OffsetCalculatorILi3EjLb0EEiEEviPT_PKS4_S7_T0_T1_S9_S9_.numbered_sgpr, 58
	.set _ZN2at6native12cross_kernelIi16OffsetCalculatorILi3EjLb0EEiEEviPT_PKS4_S7_T0_T1_S9_S9_.num_named_barrier, 0
	.set _ZN2at6native12cross_kernelIi16OffsetCalculatorILi3EjLb0EEiEEviPT_PKS4_S7_T0_T1_S9_S9_.private_seg_size, 0
	.set _ZN2at6native12cross_kernelIi16OffsetCalculatorILi3EjLb0EEiEEviPT_PKS4_S7_T0_T1_S9_S9_.uses_vcc, 1
	.set _ZN2at6native12cross_kernelIi16OffsetCalculatorILi3EjLb0EEiEEviPT_PKS4_S7_T0_T1_S9_S9_.uses_flat_scratch, 0
	.set _ZN2at6native12cross_kernelIi16OffsetCalculatorILi3EjLb0EEiEEviPT_PKS4_S7_T0_T1_S9_S9_.has_dyn_sized_stack, 0
	.set _ZN2at6native12cross_kernelIi16OffsetCalculatorILi3EjLb0EEiEEviPT_PKS4_S7_T0_T1_S9_S9_.has_recursion, 0
	.set _ZN2at6native12cross_kernelIi16OffsetCalculatorILi3EjLb0EEiEEviPT_PKS4_S7_T0_T1_S9_S9_.has_indirect_call, 0
	.section	.AMDGPU.csdata,"",@progbits
; Kernel info:
; codeLenInByte = 1116
; TotalNumSgprs: 62
; NumVgprs: 17
; ScratchSize: 0
; MemoryBound: 0
; FloatMode: 240
; IeeeMode: 1
; LDSByteSize: 0 bytes/workgroup (compile time only)
; SGPRBlocks: 7
; VGPRBlocks: 4
; NumSGPRsForWavesPerEU: 62
; NumVGPRsForWavesPerEU: 17
; Occupancy: 10
; WaveLimiterHint : 1
; COMPUTE_PGM_RSRC2:SCRATCH_EN: 0
; COMPUTE_PGM_RSRC2:USER_SGPR: 6
; COMPUTE_PGM_RSRC2:TRAP_HANDLER: 0
; COMPUTE_PGM_RSRC2:TGID_X_EN: 1
; COMPUTE_PGM_RSRC2:TGID_Y_EN: 0
; COMPUTE_PGM_RSRC2:TGID_Z_EN: 0
; COMPUTE_PGM_RSRC2:TIDIG_COMP_CNT: 0
	.section	.text._ZN2at6native12cross_kernelIl16OffsetCalculatorILi3EjLb0EElEEviPT_PKS4_S7_T0_T1_S9_S9_,"axG",@progbits,_ZN2at6native12cross_kernelIl16OffsetCalculatorILi3EjLb0EElEEviPT_PKS4_S7_T0_T1_S9_S9_,comdat
	.protected	_ZN2at6native12cross_kernelIl16OffsetCalculatorILi3EjLb0EElEEviPT_PKS4_S7_T0_T1_S9_S9_ ; -- Begin function _ZN2at6native12cross_kernelIl16OffsetCalculatorILi3EjLb0EElEEviPT_PKS4_S7_T0_T1_S9_S9_
	.globl	_ZN2at6native12cross_kernelIl16OffsetCalculatorILi3EjLb0EElEEviPT_PKS4_S7_T0_T1_S9_S9_
	.p2align	8
	.type	_ZN2at6native12cross_kernelIl16OffsetCalculatorILi3EjLb0EElEEviPT_PKS4_S7_T0_T1_S9_S9_,@function
_ZN2at6native12cross_kernelIl16OffsetCalculatorILi3EjLb0EElEEviPT_PKS4_S7_T0_T1_S9_S9_: ; @_ZN2at6native12cross_kernelIl16OffsetCalculatorILi3EjLb0EElEEviPT_PKS4_S7_T0_T1_S9_S9_
; %bb.0:
	s_load_dword s24, s[4:5], 0x0
	s_load_dword s2, s[4:5], 0x1cc
	v_mov_b32_e32 v1, 0
	v_mov_b32_e32 v2, s6
	s_waitcnt lgkmcnt(0)
	s_ashr_i32 s25, s24, 31
	s_add_u32 s0, s4, 0x1c0
	s_addc_u32 s1, s5, 0
	s_and_b32 s2, s2, 0xffff
	v_mad_u64_u32 v[2:3], s[6:7], s2, v2, v[0:1]
	v_cmp_gt_i64_e32 vcc, s[24:25], v[2:3]
	s_and_saveexec_b64 s[6:7], vcc
	s_cbranch_execz .LBB6_13
; %bb.1:
	s_load_dwordx4 s[16:19], s[4:5], 0x8
	s_load_dwordx2 s[28:29], s[4:5], 0x18
	s_load_dwordx8 s[8:15], s[4:5], 0x20
	s_load_dwordx2 s[6:7], s[4:5], 0x1b8
	s_load_dwordx4 s[48:51], s[4:5], 0x1a8
	s_load_dword s3, s[0:1], 0x0
	s_add_u32 s26, s4, 8
	s_waitcnt lgkmcnt(0)
	v_sub_co_u32_e64 v0, s[0:1], s8, 1
	v_readfirstlane_b32 s15, v0
	s_addc_u32 s27, s5, 0
	s_xor_b64 s[0:1], s[0:1], -1
	s_min_u32 s33, s15, 15
	s_cmp_gt_u32 s8, 1
	s_cselect_b64 s[34:35], -1, 0
	s_mov_b32 s8, s13
	s_mul_i32 s13, s3, s2
	s_add_i32 s2, s33, 1
	s_load_dwordx4 s[20:23], s[4:5], 0xe4
	s_load_dwordx2 s[30:31], s[4:5], 0xf4
	s_lshl_b64 s[36:37], s[6:7], 4
	s_and_b32 s15, s2, 30
	s_bitcmp0_b32 s33, 0
	s_cselect_b64 s[2:3], -1, 0
	s_lshl_b64 s[38:39], s[50:51], 3
	s_lshl_b64 s[4:5], s[6:7], 3
	v_cmp_lt_u32_e32 vcc, 1, v0
	s_sub_u32 s33, 0, s4
	v_cndmask_b32_e64 v0, 0, 1, vcc
	v_cndmask_b32_e64 v4, 0, 1, s[0:1]
	v_cndmask_b32_e64 v5, 0, 1, s[2:3]
	s_mov_b64 s[40:41], 0
	s_subb_u32 s44, 0, s5
	s_lshl_b64 s[42:43], s[48:49], 3
	v_cmp_ne_u32_e64 s[0:1], 1, v0
	v_cmp_ne_u32_e64 s[2:3], 1, v4
	;; [unrolled: 1-line block ×3, first 2 shown]
	s_branch .LBB6_3
.LBB6_2:                                ;   in Loop: Header=BB6_3 Depth=1
	v_mov_b32_e32 v7, v1
	v_lshlrev_b64 v[5:6], 3, v[6:7]
	v_mov_b32_e32 v8, s19
	v_add_co_u32_e32 v7, vcc, s18, v5
	v_mov_b32_e32 v5, v1
	v_lshlrev_b64 v[4:5], 3, v[4:5]
	v_addc_co_u32_e32 v8, vcc, v8, v6, vcc
	v_mov_b32_e32 v6, s29
	v_add_co_u32_e32 v4, vcc, s28, v4
	v_addc_co_u32_e32 v5, vcc, v6, v5, vcc
	v_mov_b32_e32 v6, s39
	v_add_co_u32_e32 v9, vcc, s38, v7
	;; [unrolled: 3-line block ×3, first 2 shown]
	v_addc_co_u32_e32 v12, vcc, v5, v12, vcc
	global_load_dwordx2 v[13:14], v[9:10], off
	global_load_dwordx2 v[15:16], v[11:12], off
	;; [unrolled: 1-line block ×4, first 2 shown]
	v_add_co_u32_e32 v4, vcc, s38, v9
	v_addc_co_u32_e32 v5, vcc, v10, v6, vcc
	v_mov_b32_e32 v7, s44
	v_add_co_u32_e32 v6, vcc, s33, v11
	v_addc_co_u32_e32 v7, vcc, v12, v7, vcc
	global_load_dwordx2 v[4:5], v[4:5], off
	v_lshlrev_b64 v[8:9], 3, v[0:1]
	global_load_dwordx2 v[6:7], v[6:7], off
	v_mov_b32_e32 v0, s17
	v_add_co_u32_e32 v8, vcc, s16, v8
	v_addc_co_u32_e32 v9, vcc, v0, v9, vcc
	s_waitcnt vmcnt(4)
	v_mul_lo_u32 v0, v16, v13
	v_mul_lo_u32 v21, v15, v14
	v_mad_u64_u32 v[10:11], s[6:7], v15, v13, 0
	s_waitcnt vmcnt(2)
	v_mul_lo_u32 v24, v20, v13
	v_mul_lo_u32 v14, v19, v14
	v_mad_u64_u32 v[12:13], s[6:7], v19, v13, 0
	v_mul_lo_u32 v22, v18, v15
	v_mul_lo_u32 v23, v17, v16
	v_mad_u64_u32 v[15:16], s[6:7], v17, v15, 0
	s_waitcnt vmcnt(1)
	v_mul_lo_u32 v25, v20, v4
	v_mul_lo_u32 v26, v19, v5
	v_mad_u64_u32 v[19:20], s[6:7], v19, v4, 0
	s_waitcnt vmcnt(0)
	v_mul_lo_u32 v27, v7, v4
	v_mul_lo_u32 v28, v6, v5
	v_mad_u64_u32 v[4:5], s[6:7], v6, v4, 0
	v_mul_lo_u32 v18, v18, v6
	v_mul_lo_u32 v29, v17, v7
	v_mad_u64_u32 v[6:7], s[6:7], v17, v6, 0
	v_add3_u32 v0, v11, v21, v0
	v_add3_u32 v17, v13, v14, v24
	v_mov_b32_e32 v21, s43
	v_add_co_u32_e32 v13, vcc, s42, v8
	v_addc_co_u32_e32 v14, vcc, v9, v21, vcc
	v_add3_u32 v5, v5, v28, v27
	v_sub_co_u32_e32 v4, vcc, v10, v4
	v_subb_co_u32_e32 v5, vcc, v0, v5, vcc
	v_add3_u32 v16, v16, v23, v22
	v_add3_u32 v11, v20, v26, v25
	v_sub_co_u32_e32 v10, vcc, v19, v15
	v_subb_co_u32_e32 v11, vcc, v11, v16, vcc
	v_add3_u32 v7, v7, v29, v18
	v_sub_co_u32_e32 v6, vcc, v6, v12
	v_subb_co_u32_e32 v7, vcc, v7, v17, vcc
	v_add_co_u32_e32 v2, vcc, s13, v2
	v_addc_co_u32_e32 v3, vcc, 0, v3, vcc
	v_cmp_le_i64_e32 vcc, s[24:25], v[2:3]
	global_store_dwordx2 v[8:9], v[4:5], off
	global_store_dwordx2 v[13:14], v[10:11], off
	v_add_co_u32_e64 v4, s[6:7], s42, v13
	v_addc_co_u32_e64 v5, s[6:7], v14, v21, s[6:7]
	s_or_b64 s[40:41], vcc, s[40:41]
	global_store_dwordx2 v[4:5], v[6:7], off
	s_andn2_b64 exec, exec, s[40:41]
	s_cbranch_execz .LBB6_13
.LBB6_3:                                ; =>This Loop Header: Depth=1
                                        ;     Child Loop BB6_6 Depth 2
	s_and_b64 vcc, exec, s[0:1]
	s_mov_b64 s[6:7], -1
                                        ; implicit-def: $vgpr6
                                        ; implicit-def: $vgpr4
	s_cbranch_vccnz .LBB6_10
; %bb.4:                                ;   in Loop: Header=BB6_3 Depth=1
	v_mov_b32_e32 v0, 0
	s_and_b64 vcc, exec, s[2:3]
	v_mov_b32_e32 v6, 0
	v_mov_b32_e32 v4, 0
	s_cbranch_vccnz .LBB6_9
; %bb.5:                                ;   in Loop: Header=BB6_3 Depth=1
	v_mov_b32_e32 v4, 0
	s_mov_b32 s45, s15
	s_mov_b64 s[6:7], s[26:27]
	v_mov_b32_e32 v6, 0
	v_mov_b32_e32 v0, v4
	;; [unrolled: 1-line block ×3, first 2 shown]
.LBB6_6:                                ;   Parent Loop BB6_3 Depth=1
                                        ; =>  This Inner Loop Header: Depth=2
	s_load_dwordx4 s[48:51], s[6:7], 0x1c
	s_load_dwordx2 s[46:47], s[6:7], 0x2c
	s_load_dwordx2 s[56:57], s[6:7], 0xec
	s_load_dwordx4 s[52:55], s[6:7], 0xdc
	s_add_u32 s6, s6, 24
	s_waitcnt lgkmcnt(0)
	v_mul_hi_u32 v7, s49, v5
	s_addc_u32 s7, s7, 0
	s_add_i32 s45, s45, -2
	s_cmp_lg_u32 s45, 0
	v_add_u32_e32 v7, v5, v7
	v_lshrrev_b32_e32 v7, s50, v7
	v_mul_lo_u32 v8, v7, s48
	v_mul_hi_u32 v9, s46, v7
	v_sub_u32_e32 v8, v5, v8
	v_add_u32_e32 v5, v7, v9
	v_lshrrev_b32_e32 v5, s47, v5
	v_mul_lo_u32 v11, v5, s51
	v_mul_lo_u32 v9, v8, s52
	;; [unrolled: 1-line block ×4, first 2 shown]
	v_sub_u32_e32 v7, v7, v11
	v_mul_lo_u32 v11, v7, s55
	v_mul_lo_u32 v12, v7, s56
	;; [unrolled: 1-line block ×3, first 2 shown]
	v_add3_u32 v0, v9, v0, v11
	v_add3_u32 v6, v10, v6, v12
	;; [unrolled: 1-line block ×3, first 2 shown]
	s_cbranch_scc1 .LBB6_6
; %bb.7:                                ;   in Loop: Header=BB6_3 Depth=1
	s_and_b64 vcc, exec, s[4:5]
	s_cbranch_vccnz .LBB6_9
; %bb.8:                                ;   in Loop: Header=BB6_3 Depth=1
	s_load_dwordx2 s[46:47], s[6:7], 0x1c
	s_load_dword s45, s[6:7], 0x24
	s_load_dwordx2 s[48:49], s[6:7], 0xdc
	s_waitcnt lgkmcnt(0)
	v_mul_hi_u32 v7, s47, v5
	v_add_u32_e32 v7, v5, v7
	v_lshrrev_b32_e32 v7, s45, v7
	v_mul_lo_u32 v7, v7, s46
	s_load_dword s45, s[6:7], 0xe4
	v_sub_u32_e32 v5, v5, v7
	v_mad_u64_u32 v[8:9], s[6:7], v5, s48, v[0:1]
	v_mad_u64_u32 v[6:7], s[6:7], v5, s49, v[6:7]
	s_waitcnt lgkmcnt(0)
	v_mad_u64_u32 v[4:5], s[6:7], v5, s45, v[4:5]
	v_mov_b32_e32 v0, v8
.LBB6_9:                                ;   in Loop: Header=BB6_3 Depth=1
	s_mov_b64 s[6:7], 0
.LBB6_10:                               ;   in Loop: Header=BB6_3 Depth=1
	s_andn2_b64 vcc, exec, s[6:7]
	s_cbranch_vccnz .LBB6_2
; %bb.11:                               ;   in Loop: Header=BB6_3 Depth=1
	v_mul_lo_u32 v0, v3, s10
	v_mul_hi_u32 v4, v2, s10
	s_andn2_b64 vcc, exec, s[34:35]
	v_add3_u32 v0, v4, v0, v2
	v_lshrrev_b32_e32 v5, s11, v0
	v_mul_lo_u32 v0, v5, s9
	v_sub_u32_e32 v4, v2, v0
	s_waitcnt lgkmcnt(0)
	v_mul_lo_u32 v0, v4, s20
	v_mul_lo_u32 v6, v4, s21
	;; [unrolled: 1-line block ×3, first 2 shown]
	s_cbranch_vccnz .LBB6_2
; %bb.12:                               ;   in Loop: Header=BB6_3 Depth=1
	v_mul_hi_u32 v7, s8, v5
	v_add_u32_e32 v7, v5, v7
	v_lshrrev_b32_e32 v7, s14, v7
	v_mul_lo_u32 v7, v7, s12
	v_sub_u32_e32 v5, v5, v7
	v_mad_u64_u32 v[8:9], s[6:7], v5, s23, v[0:1]
	v_mad_u64_u32 v[6:7], s[6:7], v5, s30, v[6:7]
	;; [unrolled: 1-line block ×3, first 2 shown]
	v_mov_b32_e32 v0, v8
	s_branch .LBB6_2
.LBB6_13:
	s_endpgm
	.section	.rodata,"a",@progbits
	.p2align	6, 0x0
	.amdhsa_kernel _ZN2at6native12cross_kernelIl16OffsetCalculatorILi3EjLb0EElEEviPT_PKS4_S7_T0_T1_S9_S9_
		.amdhsa_group_segment_fixed_size 0
		.amdhsa_private_segment_fixed_size 0
		.amdhsa_kernarg_size 704
		.amdhsa_user_sgpr_count 6
		.amdhsa_user_sgpr_private_segment_buffer 1
		.amdhsa_user_sgpr_dispatch_ptr 0
		.amdhsa_user_sgpr_queue_ptr 0
		.amdhsa_user_sgpr_kernarg_segment_ptr 1
		.amdhsa_user_sgpr_dispatch_id 0
		.amdhsa_user_sgpr_flat_scratch_init 0
		.amdhsa_user_sgpr_private_segment_size 0
		.amdhsa_uses_dynamic_stack 0
		.amdhsa_system_sgpr_private_segment_wavefront_offset 0
		.amdhsa_system_sgpr_workgroup_id_x 1
		.amdhsa_system_sgpr_workgroup_id_y 0
		.amdhsa_system_sgpr_workgroup_id_z 0
		.amdhsa_system_sgpr_workgroup_info 0
		.amdhsa_system_vgpr_workitem_id 0
		.amdhsa_next_free_vgpr 30
		.amdhsa_next_free_sgpr 58
		.amdhsa_reserve_vcc 1
		.amdhsa_reserve_flat_scratch 0
		.amdhsa_float_round_mode_32 0
		.amdhsa_float_round_mode_16_64 0
		.amdhsa_float_denorm_mode_32 3
		.amdhsa_float_denorm_mode_16_64 3
		.amdhsa_dx10_clamp 1
		.amdhsa_ieee_mode 1
		.amdhsa_fp16_overflow 0
		.amdhsa_exception_fp_ieee_invalid_op 0
		.amdhsa_exception_fp_denorm_src 0
		.amdhsa_exception_fp_ieee_div_zero 0
		.amdhsa_exception_fp_ieee_overflow 0
		.amdhsa_exception_fp_ieee_underflow 0
		.amdhsa_exception_fp_ieee_inexact 0
		.amdhsa_exception_int_div_zero 0
	.end_amdhsa_kernel
	.section	.text._ZN2at6native12cross_kernelIl16OffsetCalculatorILi3EjLb0EElEEviPT_PKS4_S7_T0_T1_S9_S9_,"axG",@progbits,_ZN2at6native12cross_kernelIl16OffsetCalculatorILi3EjLb0EElEEviPT_PKS4_S7_T0_T1_S9_S9_,comdat
.Lfunc_end6:
	.size	_ZN2at6native12cross_kernelIl16OffsetCalculatorILi3EjLb0EElEEviPT_PKS4_S7_T0_T1_S9_S9_, .Lfunc_end6-_ZN2at6native12cross_kernelIl16OffsetCalculatorILi3EjLb0EElEEviPT_PKS4_S7_T0_T1_S9_S9_
                                        ; -- End function
	.set _ZN2at6native12cross_kernelIl16OffsetCalculatorILi3EjLb0EElEEviPT_PKS4_S7_T0_T1_S9_S9_.num_vgpr, 30
	.set _ZN2at6native12cross_kernelIl16OffsetCalculatorILi3EjLb0EElEEviPT_PKS4_S7_T0_T1_S9_S9_.num_agpr, 0
	.set _ZN2at6native12cross_kernelIl16OffsetCalculatorILi3EjLb0EElEEviPT_PKS4_S7_T0_T1_S9_S9_.numbered_sgpr, 58
	.set _ZN2at6native12cross_kernelIl16OffsetCalculatorILi3EjLb0EElEEviPT_PKS4_S7_T0_T1_S9_S9_.num_named_barrier, 0
	.set _ZN2at6native12cross_kernelIl16OffsetCalculatorILi3EjLb0EElEEviPT_PKS4_S7_T0_T1_S9_S9_.private_seg_size, 0
	.set _ZN2at6native12cross_kernelIl16OffsetCalculatorILi3EjLb0EElEEviPT_PKS4_S7_T0_T1_S9_S9_.uses_vcc, 1
	.set _ZN2at6native12cross_kernelIl16OffsetCalculatorILi3EjLb0EElEEviPT_PKS4_S7_T0_T1_S9_S9_.uses_flat_scratch, 0
	.set _ZN2at6native12cross_kernelIl16OffsetCalculatorILi3EjLb0EElEEviPT_PKS4_S7_T0_T1_S9_S9_.has_dyn_sized_stack, 0
	.set _ZN2at6native12cross_kernelIl16OffsetCalculatorILi3EjLb0EElEEviPT_PKS4_S7_T0_T1_S9_S9_.has_recursion, 0
	.set _ZN2at6native12cross_kernelIl16OffsetCalculatorILi3EjLb0EElEEviPT_PKS4_S7_T0_T1_S9_S9_.has_indirect_call, 0
	.section	.AMDGPU.csdata,"",@progbits
; Kernel info:
; codeLenInByte = 1248
; TotalNumSgprs: 62
; NumVgprs: 30
; ScratchSize: 0
; MemoryBound: 0
; FloatMode: 240
; IeeeMode: 1
; LDSByteSize: 0 bytes/workgroup (compile time only)
; SGPRBlocks: 7
; VGPRBlocks: 7
; NumSGPRsForWavesPerEU: 62
; NumVGPRsForWavesPerEU: 30
; Occupancy: 8
; WaveLimiterHint : 1
; COMPUTE_PGM_RSRC2:SCRATCH_EN: 0
; COMPUTE_PGM_RSRC2:USER_SGPR: 6
; COMPUTE_PGM_RSRC2:TRAP_HANDLER: 0
; COMPUTE_PGM_RSRC2:TGID_X_EN: 1
; COMPUTE_PGM_RSRC2:TGID_Y_EN: 0
; COMPUTE_PGM_RSRC2:TGID_Z_EN: 0
; COMPUTE_PGM_RSRC2:TIDIG_COMP_CNT: 0
	.section	.text._ZN2at6native12cross_kernelIl16OffsetCalculatorILi3EjLb0EEiEEviPT_PKS4_S7_T0_T1_S9_S9_,"axG",@progbits,_ZN2at6native12cross_kernelIl16OffsetCalculatorILi3EjLb0EEiEEviPT_PKS4_S7_T0_T1_S9_S9_,comdat
	.protected	_ZN2at6native12cross_kernelIl16OffsetCalculatorILi3EjLb0EEiEEviPT_PKS4_S7_T0_T1_S9_S9_ ; -- Begin function _ZN2at6native12cross_kernelIl16OffsetCalculatorILi3EjLb0EEiEEviPT_PKS4_S7_T0_T1_S9_S9_
	.globl	_ZN2at6native12cross_kernelIl16OffsetCalculatorILi3EjLb0EEiEEviPT_PKS4_S7_T0_T1_S9_S9_
	.p2align	8
	.type	_ZN2at6native12cross_kernelIl16OffsetCalculatorILi3EjLb0EEiEEviPT_PKS4_S7_T0_T1_S9_S9_,@function
_ZN2at6native12cross_kernelIl16OffsetCalculatorILi3EjLb0EEiEEviPT_PKS4_S7_T0_T1_S9_S9_: ; @_ZN2at6native12cross_kernelIl16OffsetCalculatorILi3EjLb0EEiEEviPT_PKS4_S7_T0_T1_S9_S9_
; %bb.0:
	s_load_dword s24, s[4:5], 0x0
	s_load_dword s2, s[4:5], 0x1bc
	v_mov_b32_e32 v1, 0
	v_mov_b32_e32 v2, s6
	s_waitcnt lgkmcnt(0)
	s_ashr_i32 s25, s24, 31
	s_add_u32 s0, s4, 0x1b0
	s_addc_u32 s1, s5, 0
	s_and_b32 s2, s2, 0xffff
	v_mad_u64_u32 v[2:3], s[6:7], s2, v2, v[0:1]
	v_cmp_gt_i64_e32 vcc, s[24:25], v[2:3]
	s_and_saveexec_b64 s[6:7], vcc
	s_cbranch_execz .LBB7_13
; %bb.1:
	s_load_dwordx8 s[8:15], s[4:5], 0x20
	s_load_dwordx4 s[16:19], s[4:5], 0x8
	s_load_dwordx2 s[28:29], s[4:5], 0x18
	s_load_dwordx4 s[40:43], s[4:5], 0x1a4
	s_load_dword s3, s[0:1], 0x0
	s_waitcnt lgkmcnt(0)
	v_sub_co_u32_e64 v0, s[0:1], s8, 1
	s_add_u32 s26, s4, 8
	v_readfirstlane_b32 s6, v0
	s_addc_u32 s27, s5, 0
	s_xor_b64 s[0:1], s[0:1], -1
	s_min_u32 s33, s6, 15
	s_cmp_gt_u32 s8, 1
	s_cselect_b64 s[34:35], -1, 0
	s_mov_b32 s8, s13
	s_lshl_b32 s6, s42, 1
	s_mul_i32 s13, s3, s2
	s_add_i32 s2, s33, 1
	s_load_dwordx4 s[20:23], s[4:5], 0xe4
	s_load_dwordx2 s[30:31], s[4:5], 0xf4
	s_ashr_i32 s5, s41, 31
	s_mov_b32 s4, s41
	s_ashr_i32 s7, s6, 31
	s_ashr_i32 s41, s40, 31
	s_and_b32 s15, s2, 30
	s_bitcmp0_b32 s33, 0
	s_cselect_b64 s[2:3], -1, 0
	s_ashr_i32 s43, s42, 31
	s_lshl_b64 s[36:37], s[4:5], 3
	s_lshl_b64 s[4:5], s[42:43], 3
	v_cmp_lt_u32_e32 vcc, 1, v0
	s_sub_u32 s33, 0, s4
	v_cndmask_b32_e64 v0, 0, 1, vcc
	v_cndmask_b32_e64 v4, 0, 1, s[0:1]
	v_cndmask_b32_e64 v5, 0, 1, s[2:3]
	s_mov_b64 s[38:39], 0
	s_subb_u32 s44, 0, s5
	s_lshl_b64 s[40:41], s[40:41], 3
	s_lshl_b64 s[42:43], s[6:7], 3
	v_cmp_ne_u32_e64 s[0:1], 1, v0
	v_cmp_ne_u32_e64 s[2:3], 1, v4
	;; [unrolled: 1-line block ×3, first 2 shown]
	s_branch .LBB7_3
.LBB7_2:                                ;   in Loop: Header=BB7_3 Depth=1
	v_mov_b32_e32 v7, v1
	v_lshlrev_b64 v[5:6], 3, v[6:7]
	v_mov_b32_e32 v8, s19
	v_add_co_u32_e32 v7, vcc, s18, v5
	v_mov_b32_e32 v5, v1
	v_lshlrev_b64 v[4:5], 3, v[4:5]
	v_addc_co_u32_e32 v8, vcc, v8, v6, vcc
	v_mov_b32_e32 v6, s29
	v_add_co_u32_e32 v4, vcc, s28, v4
	v_addc_co_u32_e32 v5, vcc, v6, v5, vcc
	v_mov_b32_e32 v6, s37
	v_add_co_u32_e32 v9, vcc, s36, v7
	v_addc_co_u32_e32 v10, vcc, v8, v6, vcc
	v_mov_b32_e32 v12, s43
	v_add_co_u32_e32 v11, vcc, s42, v4
	v_addc_co_u32_e32 v12, vcc, v5, v12, vcc
	global_load_dwordx2 v[13:14], v[9:10], off
	global_load_dwordx2 v[15:16], v[11:12], off
	;; [unrolled: 1-line block ×4, first 2 shown]
	v_add_co_u32_e32 v4, vcc, s36, v9
	v_addc_co_u32_e32 v5, vcc, v10, v6, vcc
	v_mov_b32_e32 v7, s44
	v_add_co_u32_e32 v6, vcc, s33, v11
	v_addc_co_u32_e32 v7, vcc, v12, v7, vcc
	global_load_dwordx2 v[4:5], v[4:5], off
	v_lshlrev_b64 v[8:9], 3, v[0:1]
	global_load_dwordx2 v[6:7], v[6:7], off
	v_mov_b32_e32 v0, s17
	v_add_co_u32_e32 v8, vcc, s16, v8
	v_addc_co_u32_e32 v9, vcc, v0, v9, vcc
	s_waitcnt vmcnt(4)
	v_mul_lo_u32 v0, v16, v13
	v_mul_lo_u32 v21, v15, v14
	v_mad_u64_u32 v[10:11], s[6:7], v15, v13, 0
	s_waitcnt vmcnt(2)
	v_mul_lo_u32 v24, v20, v13
	v_mul_lo_u32 v14, v19, v14
	v_mad_u64_u32 v[12:13], s[6:7], v19, v13, 0
	v_mul_lo_u32 v22, v18, v15
	v_mul_lo_u32 v23, v17, v16
	v_mad_u64_u32 v[15:16], s[6:7], v17, v15, 0
	s_waitcnt vmcnt(1)
	v_mul_lo_u32 v25, v20, v4
	v_mul_lo_u32 v26, v19, v5
	v_mad_u64_u32 v[19:20], s[6:7], v19, v4, 0
	s_waitcnt vmcnt(0)
	v_mul_lo_u32 v27, v7, v4
	v_mul_lo_u32 v28, v6, v5
	v_mad_u64_u32 v[4:5], s[6:7], v6, v4, 0
	v_mul_lo_u32 v18, v18, v6
	v_mul_lo_u32 v29, v17, v7
	v_mad_u64_u32 v[6:7], s[6:7], v17, v6, 0
	v_add3_u32 v0, v11, v21, v0
	v_add3_u32 v17, v13, v14, v24
	v_mov_b32_e32 v21, s41
	v_add_co_u32_e32 v13, vcc, s40, v8
	v_addc_co_u32_e32 v14, vcc, v9, v21, vcc
	v_add3_u32 v5, v5, v28, v27
	v_sub_co_u32_e32 v4, vcc, v10, v4
	v_subb_co_u32_e32 v5, vcc, v0, v5, vcc
	v_add3_u32 v16, v16, v23, v22
	v_add3_u32 v11, v20, v26, v25
	v_sub_co_u32_e32 v10, vcc, v19, v15
	v_subb_co_u32_e32 v11, vcc, v11, v16, vcc
	v_add3_u32 v7, v7, v29, v18
	v_sub_co_u32_e32 v6, vcc, v6, v12
	v_subb_co_u32_e32 v7, vcc, v7, v17, vcc
	v_add_co_u32_e32 v2, vcc, s13, v2
	v_addc_co_u32_e32 v3, vcc, 0, v3, vcc
	v_cmp_le_i64_e32 vcc, s[24:25], v[2:3]
	global_store_dwordx2 v[8:9], v[4:5], off
	global_store_dwordx2 v[13:14], v[10:11], off
	v_add_co_u32_e64 v4, s[6:7], s40, v13
	v_addc_co_u32_e64 v5, s[6:7], v14, v21, s[6:7]
	s_or_b64 s[38:39], vcc, s[38:39]
	global_store_dwordx2 v[4:5], v[6:7], off
	s_andn2_b64 exec, exec, s[38:39]
	s_cbranch_execz .LBB7_13
.LBB7_3:                                ; =>This Loop Header: Depth=1
                                        ;     Child Loop BB7_6 Depth 2
	s_and_b64 vcc, exec, s[0:1]
	s_mov_b64 s[6:7], -1
                                        ; implicit-def: $vgpr6
                                        ; implicit-def: $vgpr4
	s_cbranch_vccnz .LBB7_10
; %bb.4:                                ;   in Loop: Header=BB7_3 Depth=1
	v_mov_b32_e32 v0, 0
	s_and_b64 vcc, exec, s[2:3]
	v_mov_b32_e32 v6, 0
	v_mov_b32_e32 v4, 0
	s_cbranch_vccnz .LBB7_9
; %bb.5:                                ;   in Loop: Header=BB7_3 Depth=1
	v_mov_b32_e32 v4, 0
	s_mov_b32 s45, s15
	s_mov_b64 s[6:7], s[26:27]
	v_mov_b32_e32 v6, 0
	v_mov_b32_e32 v0, v4
	;; [unrolled: 1-line block ×3, first 2 shown]
.LBB7_6:                                ;   Parent Loop BB7_3 Depth=1
                                        ; =>  This Inner Loop Header: Depth=2
	s_load_dwordx4 s[48:51], s[6:7], 0x1c
	s_load_dwordx2 s[46:47], s[6:7], 0x2c
	s_load_dwordx2 s[56:57], s[6:7], 0xec
	s_load_dwordx4 s[52:55], s[6:7], 0xdc
	s_add_u32 s6, s6, 24
	s_waitcnt lgkmcnt(0)
	v_mul_hi_u32 v7, s49, v5
	s_addc_u32 s7, s7, 0
	s_add_i32 s45, s45, -2
	s_cmp_lg_u32 s45, 0
	v_add_u32_e32 v7, v5, v7
	v_lshrrev_b32_e32 v7, s50, v7
	v_mul_lo_u32 v8, v7, s48
	v_mul_hi_u32 v9, s46, v7
	v_sub_u32_e32 v8, v5, v8
	v_add_u32_e32 v5, v7, v9
	v_lshrrev_b32_e32 v5, s47, v5
	v_mul_lo_u32 v11, v5, s51
	v_mul_lo_u32 v9, v8, s52
	;; [unrolled: 1-line block ×4, first 2 shown]
	v_sub_u32_e32 v7, v7, v11
	v_mul_lo_u32 v11, v7, s55
	v_mul_lo_u32 v12, v7, s56
	;; [unrolled: 1-line block ×3, first 2 shown]
	v_add3_u32 v0, v9, v0, v11
	v_add3_u32 v6, v10, v6, v12
	;; [unrolled: 1-line block ×3, first 2 shown]
	s_cbranch_scc1 .LBB7_6
; %bb.7:                                ;   in Loop: Header=BB7_3 Depth=1
	s_and_b64 vcc, exec, s[4:5]
	s_cbranch_vccnz .LBB7_9
; %bb.8:                                ;   in Loop: Header=BB7_3 Depth=1
	s_load_dwordx2 s[46:47], s[6:7], 0x1c
	s_load_dword s45, s[6:7], 0x24
	s_load_dwordx2 s[48:49], s[6:7], 0xdc
	s_waitcnt lgkmcnt(0)
	v_mul_hi_u32 v7, s47, v5
	v_add_u32_e32 v7, v5, v7
	v_lshrrev_b32_e32 v7, s45, v7
	v_mul_lo_u32 v7, v7, s46
	s_load_dword s45, s[6:7], 0xe4
	v_sub_u32_e32 v5, v5, v7
	v_mad_u64_u32 v[8:9], s[6:7], v5, s48, v[0:1]
	v_mad_u64_u32 v[6:7], s[6:7], v5, s49, v[6:7]
	s_waitcnt lgkmcnt(0)
	v_mad_u64_u32 v[4:5], s[6:7], v5, s45, v[4:5]
	v_mov_b32_e32 v0, v8
.LBB7_9:                                ;   in Loop: Header=BB7_3 Depth=1
	s_mov_b64 s[6:7], 0
.LBB7_10:                               ;   in Loop: Header=BB7_3 Depth=1
	s_andn2_b64 vcc, exec, s[6:7]
	s_cbranch_vccnz .LBB7_2
; %bb.11:                               ;   in Loop: Header=BB7_3 Depth=1
	v_mul_lo_u32 v0, v3, s10
	v_mul_hi_u32 v4, v2, s10
	s_andn2_b64 vcc, exec, s[34:35]
	v_add3_u32 v0, v4, v0, v2
	v_lshrrev_b32_e32 v5, s11, v0
	v_mul_lo_u32 v0, v5, s9
	v_sub_u32_e32 v4, v2, v0
	s_waitcnt lgkmcnt(0)
	v_mul_lo_u32 v0, v4, s20
	v_mul_lo_u32 v6, v4, s21
	;; [unrolled: 1-line block ×3, first 2 shown]
	s_cbranch_vccnz .LBB7_2
; %bb.12:                               ;   in Loop: Header=BB7_3 Depth=1
	v_mul_hi_u32 v7, s8, v5
	v_add_u32_e32 v7, v5, v7
	v_lshrrev_b32_e32 v7, s14, v7
	v_mul_lo_u32 v7, v7, s12
	v_sub_u32_e32 v5, v5, v7
	v_mad_u64_u32 v[8:9], s[6:7], v5, s23, v[0:1]
	v_mad_u64_u32 v[6:7], s[6:7], v5, s30, v[6:7]
	;; [unrolled: 1-line block ×3, first 2 shown]
	v_mov_b32_e32 v0, v8
	s_branch .LBB7_2
.LBB7_13:
	s_endpgm
	.section	.rodata,"a",@progbits
	.p2align	6, 0x0
	.amdhsa_kernel _ZN2at6native12cross_kernelIl16OffsetCalculatorILi3EjLb0EEiEEviPT_PKS4_S7_T0_T1_S9_S9_
		.amdhsa_group_segment_fixed_size 0
		.amdhsa_private_segment_fixed_size 0
		.amdhsa_kernarg_size 688
		.amdhsa_user_sgpr_count 6
		.amdhsa_user_sgpr_private_segment_buffer 1
		.amdhsa_user_sgpr_dispatch_ptr 0
		.amdhsa_user_sgpr_queue_ptr 0
		.amdhsa_user_sgpr_kernarg_segment_ptr 1
		.amdhsa_user_sgpr_dispatch_id 0
		.amdhsa_user_sgpr_flat_scratch_init 0
		.amdhsa_user_sgpr_private_segment_size 0
		.amdhsa_uses_dynamic_stack 0
		.amdhsa_system_sgpr_private_segment_wavefront_offset 0
		.amdhsa_system_sgpr_workgroup_id_x 1
		.amdhsa_system_sgpr_workgroup_id_y 0
		.amdhsa_system_sgpr_workgroup_id_z 0
		.amdhsa_system_sgpr_workgroup_info 0
		.amdhsa_system_vgpr_workitem_id 0
		.amdhsa_next_free_vgpr 30
		.amdhsa_next_free_sgpr 58
		.amdhsa_reserve_vcc 1
		.amdhsa_reserve_flat_scratch 0
		.amdhsa_float_round_mode_32 0
		.amdhsa_float_round_mode_16_64 0
		.amdhsa_float_denorm_mode_32 3
		.amdhsa_float_denorm_mode_16_64 3
		.amdhsa_dx10_clamp 1
		.amdhsa_ieee_mode 1
		.amdhsa_fp16_overflow 0
		.amdhsa_exception_fp_ieee_invalid_op 0
		.amdhsa_exception_fp_denorm_src 0
		.amdhsa_exception_fp_ieee_div_zero 0
		.amdhsa_exception_fp_ieee_overflow 0
		.amdhsa_exception_fp_ieee_underflow 0
		.amdhsa_exception_fp_ieee_inexact 0
		.amdhsa_exception_int_div_zero 0
	.end_amdhsa_kernel
	.section	.text._ZN2at6native12cross_kernelIl16OffsetCalculatorILi3EjLb0EEiEEviPT_PKS4_S7_T0_T1_S9_S9_,"axG",@progbits,_ZN2at6native12cross_kernelIl16OffsetCalculatorILi3EjLb0EEiEEviPT_PKS4_S7_T0_T1_S9_S9_,comdat
.Lfunc_end7:
	.size	_ZN2at6native12cross_kernelIl16OffsetCalculatorILi3EjLb0EEiEEviPT_PKS4_S7_T0_T1_S9_S9_, .Lfunc_end7-_ZN2at6native12cross_kernelIl16OffsetCalculatorILi3EjLb0EEiEEviPT_PKS4_S7_T0_T1_S9_S9_
                                        ; -- End function
	.set _ZN2at6native12cross_kernelIl16OffsetCalculatorILi3EjLb0EEiEEviPT_PKS4_S7_T0_T1_S9_S9_.num_vgpr, 30
	.set _ZN2at6native12cross_kernelIl16OffsetCalculatorILi3EjLb0EEiEEviPT_PKS4_S7_T0_T1_S9_S9_.num_agpr, 0
	.set _ZN2at6native12cross_kernelIl16OffsetCalculatorILi3EjLb0EEiEEviPT_PKS4_S7_T0_T1_S9_S9_.numbered_sgpr, 58
	.set _ZN2at6native12cross_kernelIl16OffsetCalculatorILi3EjLb0EEiEEviPT_PKS4_S7_T0_T1_S9_S9_.num_named_barrier, 0
	.set _ZN2at6native12cross_kernelIl16OffsetCalculatorILi3EjLb0EEiEEviPT_PKS4_S7_T0_T1_S9_S9_.private_seg_size, 0
	.set _ZN2at6native12cross_kernelIl16OffsetCalculatorILi3EjLb0EEiEEviPT_PKS4_S7_T0_T1_S9_S9_.uses_vcc, 1
	.set _ZN2at6native12cross_kernelIl16OffsetCalculatorILi3EjLb0EEiEEviPT_PKS4_S7_T0_T1_S9_S9_.uses_flat_scratch, 0
	.set _ZN2at6native12cross_kernelIl16OffsetCalculatorILi3EjLb0EEiEEviPT_PKS4_S7_T0_T1_S9_S9_.has_dyn_sized_stack, 0
	.set _ZN2at6native12cross_kernelIl16OffsetCalculatorILi3EjLb0EEiEEviPT_PKS4_S7_T0_T1_S9_S9_.has_recursion, 0
	.set _ZN2at6native12cross_kernelIl16OffsetCalculatorILi3EjLb0EEiEEviPT_PKS4_S7_T0_T1_S9_S9_.has_indirect_call, 0
	.section	.AMDGPU.csdata,"",@progbits
; Kernel info:
; codeLenInByte = 1264
; TotalNumSgprs: 62
; NumVgprs: 30
; ScratchSize: 0
; MemoryBound: 0
; FloatMode: 240
; IeeeMode: 1
; LDSByteSize: 0 bytes/workgroup (compile time only)
; SGPRBlocks: 7
; VGPRBlocks: 7
; NumSGPRsForWavesPerEU: 62
; NumVGPRsForWavesPerEU: 30
; Occupancy: 8
; WaveLimiterHint : 1
; COMPUTE_PGM_RSRC2:SCRATCH_EN: 0
; COMPUTE_PGM_RSRC2:USER_SGPR: 6
; COMPUTE_PGM_RSRC2:TRAP_HANDLER: 0
; COMPUTE_PGM_RSRC2:TGID_X_EN: 1
; COMPUTE_PGM_RSRC2:TGID_Y_EN: 0
; COMPUTE_PGM_RSRC2:TGID_Z_EN: 0
; COMPUTE_PGM_RSRC2:TIDIG_COMP_CNT: 0
	.section	.text._ZN2at6native12cross_kernelIs16OffsetCalculatorILi3EjLb0EElEEviPT_PKS4_S7_T0_T1_S9_S9_,"axG",@progbits,_ZN2at6native12cross_kernelIs16OffsetCalculatorILi3EjLb0EElEEviPT_PKS4_S7_T0_T1_S9_S9_,comdat
	.protected	_ZN2at6native12cross_kernelIs16OffsetCalculatorILi3EjLb0EElEEviPT_PKS4_S7_T0_T1_S9_S9_ ; -- Begin function _ZN2at6native12cross_kernelIs16OffsetCalculatorILi3EjLb0EElEEviPT_PKS4_S7_T0_T1_S9_S9_
	.globl	_ZN2at6native12cross_kernelIs16OffsetCalculatorILi3EjLb0EElEEviPT_PKS4_S7_T0_T1_S9_S9_
	.p2align	8
	.type	_ZN2at6native12cross_kernelIs16OffsetCalculatorILi3EjLb0EElEEviPT_PKS4_S7_T0_T1_S9_S9_,@function
_ZN2at6native12cross_kernelIs16OffsetCalculatorILi3EjLb0EElEEviPT_PKS4_S7_T0_T1_S9_S9_: ; @_ZN2at6native12cross_kernelIs16OffsetCalculatorILi3EjLb0EElEEviPT_PKS4_S7_T0_T1_S9_S9_
; %bb.0:
	s_load_dword s24, s[4:5], 0x0
	s_load_dword s2, s[4:5], 0x1cc
	v_mov_b32_e32 v1, 0
	v_mov_b32_e32 v2, s6
	s_waitcnt lgkmcnt(0)
	s_ashr_i32 s25, s24, 31
	s_add_u32 s0, s4, 0x1c0
	s_addc_u32 s1, s5, 0
	s_and_b32 s2, s2, 0xffff
	v_mad_u64_u32 v[2:3], s[6:7], s2, v2, v[0:1]
	v_cmp_gt_i64_e32 vcc, s[24:25], v[2:3]
	s_and_saveexec_b64 s[6:7], vcc
	s_cbranch_execz .LBB8_13
; %bb.1:
	s_load_dwordx4 s[16:19], s[4:5], 0x8
	s_load_dwordx2 s[28:29], s[4:5], 0x18
	s_load_dwordx8 s[8:15], s[4:5], 0x20
	s_load_dwordx2 s[6:7], s[4:5], 0x1b8
	s_load_dwordx4 s[48:51], s[4:5], 0x1a8
	s_load_dword s3, s[0:1], 0x0
	s_add_u32 s26, s4, 8
	s_waitcnt lgkmcnt(0)
	v_sub_co_u32_e64 v0, s[0:1], s8, 1
	v_readfirstlane_b32 s15, v0
	s_addc_u32 s27, s5, 0
	s_xor_b64 s[0:1], s[0:1], -1
	s_min_u32 s33, s15, 15
	s_cmp_gt_u32 s8, 1
	s_cselect_b64 s[34:35], -1, 0
	s_mov_b32 s8, s13
	s_mul_i32 s13, s3, s2
	s_add_i32 s2, s33, 1
	s_load_dwordx4 s[20:23], s[4:5], 0xe4
	s_load_dwordx2 s[30:31], s[4:5], 0xf4
	s_lshl_b64 s[36:37], s[6:7], 2
	s_and_b32 s15, s2, 30
	s_bitcmp0_b32 s33, 0
	s_cselect_b64 s[2:3], -1, 0
	s_lshl_b64 s[38:39], s[50:51], 1
	s_lshl_b64 s[4:5], s[6:7], 1
	v_cmp_lt_u32_e32 vcc, 1, v0
	s_sub_u32 s33, 0, s4
	v_cndmask_b32_e64 v0, 0, 1, vcc
	v_cndmask_b32_e64 v4, 0, 1, s[0:1]
	v_cndmask_b32_e64 v5, 0, 1, s[2:3]
	s_mov_b64 s[40:41], 0
	s_subb_u32 s44, 0, s5
	s_lshl_b64 s[42:43], s[48:49], 1
	v_cmp_ne_u32_e64 s[0:1], 1, v0
	v_cmp_ne_u32_e64 s[2:3], 1, v4
	;; [unrolled: 1-line block ×3, first 2 shown]
	s_branch .LBB8_3
.LBB8_2:                                ;   in Loop: Header=BB8_3 Depth=1
	v_mov_b32_e32 v7, v1
	v_lshlrev_b64 v[5:6], 1, v[6:7]
	v_mov_b32_e32 v8, s19
	v_add_co_u32_e32 v7, vcc, s18, v5
	v_mov_b32_e32 v5, v1
	v_lshlrev_b64 v[4:5], 1, v[4:5]
	v_addc_co_u32_e32 v8, vcc, v8, v6, vcc
	v_mov_b32_e32 v6, s29
	v_add_co_u32_e32 v4, vcc, s28, v4
	v_addc_co_u32_e32 v5, vcc, v6, v5, vcc
	v_mov_b32_e32 v6, s39
	v_add_co_u32_e32 v9, vcc, s38, v7
	;; [unrolled: 3-line block ×3, first 2 shown]
	v_addc_co_u32_e32 v12, vcc, v5, v12, vcc
	global_load_ushort v13, v[9:10], off
	v_add_co_u32_e32 v9, vcc, s38, v9
	v_addc_co_u32_e32 v10, vcc, v10, v6, vcc
	global_load_ushort v15, v[9:10], off
	v_mov_b32_e32 v6, s44
	v_add_co_u32_e32 v9, vcc, s33, v11
	global_load_ushort v14, v[11:12], off
	v_addc_co_u32_e32 v10, vcc, v12, v6, vcc
	global_load_ushort v11, v[7:8], off
	global_load_ushort v12, v[4:5], off
	;; [unrolled: 1-line block ×3, first 2 shown]
	v_lshlrev_b64 v[4:5], 1, v[0:1]
	v_add_co_u32_e32 v2, vcc, s13, v2
	v_mov_b32_e32 v0, s17
	v_addc_co_u32_e32 v3, vcc, 0, v3, vcc
	v_add_co_u32_e64 v4, s[6:7], s16, v4
	v_cmp_le_i64_e32 vcc, s[24:25], v[2:3]
	v_addc_co_u32_e64 v5, s[6:7], v0, v5, s[6:7]
	v_mov_b32_e32 v9, s43
	v_add_co_u32_e64 v6, s[6:7], s42, v4
	v_addc_co_u32_e64 v7, s[6:7], v5, v9, s[6:7]
	s_or_b64 s[40:41], vcc, s[40:41]
	v_add_co_u32_e32 v8, vcc, s42, v6
	v_addc_co_u32_e32 v9, vcc, v7, v9, vcc
	s_waitcnt vmcnt(3)
	v_mul_lo_u16_e32 v0, v14, v13
	s_waitcnt vmcnt(2)
	v_mul_lo_u16_e32 v10, v11, v14
	s_waitcnt vmcnt(1)
	v_mul_lo_u16_e32 v13, v12, v13
	s_waitcnt vmcnt(0)
	v_mul_lo_u16_e32 v14, v16, v15
	v_mul_lo_u16_e32 v12, v12, v15
	v_mul_lo_u16_e32 v11, v11, v16
	v_sub_u16_e32 v0, v0, v14
	v_sub_u16_e32 v10, v12, v10
	;; [unrolled: 1-line block ×3, first 2 shown]
	global_store_short v[4:5], v0, off
	global_store_short v[6:7], v10, off
	;; [unrolled: 1-line block ×3, first 2 shown]
	s_andn2_b64 exec, exec, s[40:41]
	s_cbranch_execz .LBB8_13
.LBB8_3:                                ; =>This Loop Header: Depth=1
                                        ;     Child Loop BB8_6 Depth 2
	s_and_b64 vcc, exec, s[0:1]
	s_mov_b64 s[6:7], -1
                                        ; implicit-def: $vgpr6
                                        ; implicit-def: $vgpr4
	s_cbranch_vccnz .LBB8_10
; %bb.4:                                ;   in Loop: Header=BB8_3 Depth=1
	v_mov_b32_e32 v0, 0
	s_and_b64 vcc, exec, s[2:3]
	v_mov_b32_e32 v6, 0
	v_mov_b32_e32 v4, 0
	s_cbranch_vccnz .LBB8_9
; %bb.5:                                ;   in Loop: Header=BB8_3 Depth=1
	v_mov_b32_e32 v4, 0
	s_mov_b32 s45, s15
	s_mov_b64 s[6:7], s[26:27]
	v_mov_b32_e32 v6, 0
	v_mov_b32_e32 v0, v4
	;; [unrolled: 1-line block ×3, first 2 shown]
.LBB8_6:                                ;   Parent Loop BB8_3 Depth=1
                                        ; =>  This Inner Loop Header: Depth=2
	s_load_dwordx4 s[48:51], s[6:7], 0x1c
	s_load_dwordx2 s[46:47], s[6:7], 0x2c
	s_load_dwordx2 s[56:57], s[6:7], 0xec
	s_load_dwordx4 s[52:55], s[6:7], 0xdc
	s_add_u32 s6, s6, 24
	s_waitcnt lgkmcnt(0)
	v_mul_hi_u32 v7, s49, v5
	s_addc_u32 s7, s7, 0
	s_add_i32 s45, s45, -2
	s_cmp_lg_u32 s45, 0
	v_add_u32_e32 v7, v5, v7
	v_lshrrev_b32_e32 v7, s50, v7
	v_mul_lo_u32 v8, v7, s48
	v_mul_hi_u32 v9, s46, v7
	v_sub_u32_e32 v8, v5, v8
	v_add_u32_e32 v5, v7, v9
	v_lshrrev_b32_e32 v5, s47, v5
	v_mul_lo_u32 v11, v5, s51
	v_mul_lo_u32 v9, v8, s52
	;; [unrolled: 1-line block ×4, first 2 shown]
	v_sub_u32_e32 v7, v7, v11
	v_mul_lo_u32 v11, v7, s55
	v_mul_lo_u32 v12, v7, s56
	;; [unrolled: 1-line block ×3, first 2 shown]
	v_add3_u32 v0, v9, v0, v11
	v_add3_u32 v6, v10, v6, v12
	;; [unrolled: 1-line block ×3, first 2 shown]
	s_cbranch_scc1 .LBB8_6
; %bb.7:                                ;   in Loop: Header=BB8_3 Depth=1
	s_and_b64 vcc, exec, s[4:5]
	s_cbranch_vccnz .LBB8_9
; %bb.8:                                ;   in Loop: Header=BB8_3 Depth=1
	s_load_dwordx2 s[46:47], s[6:7], 0x1c
	s_load_dword s45, s[6:7], 0x24
	s_load_dwordx2 s[48:49], s[6:7], 0xdc
	s_waitcnt lgkmcnt(0)
	v_mul_hi_u32 v7, s47, v5
	v_add_u32_e32 v7, v5, v7
	v_lshrrev_b32_e32 v7, s45, v7
	v_mul_lo_u32 v7, v7, s46
	s_load_dword s45, s[6:7], 0xe4
	v_sub_u32_e32 v5, v5, v7
	v_mad_u64_u32 v[8:9], s[6:7], v5, s48, v[0:1]
	v_mad_u64_u32 v[6:7], s[6:7], v5, s49, v[6:7]
	s_waitcnt lgkmcnt(0)
	v_mad_u64_u32 v[4:5], s[6:7], v5, s45, v[4:5]
	v_mov_b32_e32 v0, v8
.LBB8_9:                                ;   in Loop: Header=BB8_3 Depth=1
	s_mov_b64 s[6:7], 0
.LBB8_10:                               ;   in Loop: Header=BB8_3 Depth=1
	s_andn2_b64 vcc, exec, s[6:7]
	s_cbranch_vccnz .LBB8_2
; %bb.11:                               ;   in Loop: Header=BB8_3 Depth=1
	v_mul_lo_u32 v0, v3, s10
	v_mul_hi_u32 v4, v2, s10
	s_andn2_b64 vcc, exec, s[34:35]
	v_add3_u32 v0, v4, v0, v2
	v_lshrrev_b32_e32 v5, s11, v0
	v_mul_lo_u32 v0, v5, s9
	v_sub_u32_e32 v4, v2, v0
	s_waitcnt lgkmcnt(0)
	v_mul_lo_u32 v0, v4, s20
	v_mul_lo_u32 v6, v4, s21
	;; [unrolled: 1-line block ×3, first 2 shown]
	s_cbranch_vccnz .LBB8_2
; %bb.12:                               ;   in Loop: Header=BB8_3 Depth=1
	v_mul_hi_u32 v7, s8, v5
	v_add_u32_e32 v7, v5, v7
	v_lshrrev_b32_e32 v7, s14, v7
	v_mul_lo_u32 v7, v7, s12
	v_sub_u32_e32 v5, v5, v7
	v_mad_u64_u32 v[8:9], s[6:7], v5, s23, v[0:1]
	v_mad_u64_u32 v[6:7], s[6:7], v5, s30, v[6:7]
	;; [unrolled: 1-line block ×3, first 2 shown]
	v_mov_b32_e32 v0, v8
	s_branch .LBB8_2
.LBB8_13:
	s_endpgm
	.section	.rodata,"a",@progbits
	.p2align	6, 0x0
	.amdhsa_kernel _ZN2at6native12cross_kernelIs16OffsetCalculatorILi3EjLb0EElEEviPT_PKS4_S7_T0_T1_S9_S9_
		.amdhsa_group_segment_fixed_size 0
		.amdhsa_private_segment_fixed_size 0
		.amdhsa_kernarg_size 704
		.amdhsa_user_sgpr_count 6
		.amdhsa_user_sgpr_private_segment_buffer 1
		.amdhsa_user_sgpr_dispatch_ptr 0
		.amdhsa_user_sgpr_queue_ptr 0
		.amdhsa_user_sgpr_kernarg_segment_ptr 1
		.amdhsa_user_sgpr_dispatch_id 0
		.amdhsa_user_sgpr_flat_scratch_init 0
		.amdhsa_user_sgpr_private_segment_size 0
		.amdhsa_uses_dynamic_stack 0
		.amdhsa_system_sgpr_private_segment_wavefront_offset 0
		.amdhsa_system_sgpr_workgroup_id_x 1
		.amdhsa_system_sgpr_workgroup_id_y 0
		.amdhsa_system_sgpr_workgroup_id_z 0
		.amdhsa_system_sgpr_workgroup_info 0
		.amdhsa_system_vgpr_workitem_id 0
		.amdhsa_next_free_vgpr 17
		.amdhsa_next_free_sgpr 58
		.amdhsa_reserve_vcc 1
		.amdhsa_reserve_flat_scratch 0
		.amdhsa_float_round_mode_32 0
		.amdhsa_float_round_mode_16_64 0
		.amdhsa_float_denorm_mode_32 3
		.amdhsa_float_denorm_mode_16_64 3
		.amdhsa_dx10_clamp 1
		.amdhsa_ieee_mode 1
		.amdhsa_fp16_overflow 0
		.amdhsa_exception_fp_ieee_invalid_op 0
		.amdhsa_exception_fp_denorm_src 0
		.amdhsa_exception_fp_ieee_div_zero 0
		.amdhsa_exception_fp_ieee_overflow 0
		.amdhsa_exception_fp_ieee_underflow 0
		.amdhsa_exception_fp_ieee_inexact 0
		.amdhsa_exception_int_div_zero 0
	.end_amdhsa_kernel
	.section	.text._ZN2at6native12cross_kernelIs16OffsetCalculatorILi3EjLb0EElEEviPT_PKS4_S7_T0_T1_S9_S9_,"axG",@progbits,_ZN2at6native12cross_kernelIs16OffsetCalculatorILi3EjLb0EElEEviPT_PKS4_S7_T0_T1_S9_S9_,comdat
.Lfunc_end8:
	.size	_ZN2at6native12cross_kernelIs16OffsetCalculatorILi3EjLb0EElEEviPT_PKS4_S7_T0_T1_S9_S9_, .Lfunc_end8-_ZN2at6native12cross_kernelIs16OffsetCalculatorILi3EjLb0EElEEviPT_PKS4_S7_T0_T1_S9_S9_
                                        ; -- End function
	.set _ZN2at6native12cross_kernelIs16OffsetCalculatorILi3EjLb0EElEEviPT_PKS4_S7_T0_T1_S9_S9_.num_vgpr, 17
	.set _ZN2at6native12cross_kernelIs16OffsetCalculatorILi3EjLb0EElEEviPT_PKS4_S7_T0_T1_S9_S9_.num_agpr, 0
	.set _ZN2at6native12cross_kernelIs16OffsetCalculatorILi3EjLb0EElEEviPT_PKS4_S7_T0_T1_S9_S9_.numbered_sgpr, 58
	.set _ZN2at6native12cross_kernelIs16OffsetCalculatorILi3EjLb0EElEEviPT_PKS4_S7_T0_T1_S9_S9_.num_named_barrier, 0
	.set _ZN2at6native12cross_kernelIs16OffsetCalculatorILi3EjLb0EElEEviPT_PKS4_S7_T0_T1_S9_S9_.private_seg_size, 0
	.set _ZN2at6native12cross_kernelIs16OffsetCalculatorILi3EjLb0EElEEviPT_PKS4_S7_T0_T1_S9_S9_.uses_vcc, 1
	.set _ZN2at6native12cross_kernelIs16OffsetCalculatorILi3EjLb0EElEEviPT_PKS4_S7_T0_T1_S9_S9_.uses_flat_scratch, 0
	.set _ZN2at6native12cross_kernelIs16OffsetCalculatorILi3EjLb0EElEEviPT_PKS4_S7_T0_T1_S9_S9_.has_dyn_sized_stack, 0
	.set _ZN2at6native12cross_kernelIs16OffsetCalculatorILi3EjLb0EElEEviPT_PKS4_S7_T0_T1_S9_S9_.has_recursion, 0
	.set _ZN2at6native12cross_kernelIs16OffsetCalculatorILi3EjLb0EElEEviPT_PKS4_S7_T0_T1_S9_S9_.has_indirect_call, 0
	.section	.AMDGPU.csdata,"",@progbits
; Kernel info:
; codeLenInByte = 1076
; TotalNumSgprs: 62
; NumVgprs: 17
; ScratchSize: 0
; MemoryBound: 0
; FloatMode: 240
; IeeeMode: 1
; LDSByteSize: 0 bytes/workgroup (compile time only)
; SGPRBlocks: 7
; VGPRBlocks: 4
; NumSGPRsForWavesPerEU: 62
; NumVGPRsForWavesPerEU: 17
; Occupancy: 10
; WaveLimiterHint : 1
; COMPUTE_PGM_RSRC2:SCRATCH_EN: 0
; COMPUTE_PGM_RSRC2:USER_SGPR: 6
; COMPUTE_PGM_RSRC2:TRAP_HANDLER: 0
; COMPUTE_PGM_RSRC2:TGID_X_EN: 1
; COMPUTE_PGM_RSRC2:TGID_Y_EN: 0
; COMPUTE_PGM_RSRC2:TGID_Z_EN: 0
; COMPUTE_PGM_RSRC2:TIDIG_COMP_CNT: 0
	.section	.text._ZN2at6native12cross_kernelIs16OffsetCalculatorILi3EjLb0EEiEEviPT_PKS4_S7_T0_T1_S9_S9_,"axG",@progbits,_ZN2at6native12cross_kernelIs16OffsetCalculatorILi3EjLb0EEiEEviPT_PKS4_S7_T0_T1_S9_S9_,comdat
	.protected	_ZN2at6native12cross_kernelIs16OffsetCalculatorILi3EjLb0EEiEEviPT_PKS4_S7_T0_T1_S9_S9_ ; -- Begin function _ZN2at6native12cross_kernelIs16OffsetCalculatorILi3EjLb0EEiEEviPT_PKS4_S7_T0_T1_S9_S9_
	.globl	_ZN2at6native12cross_kernelIs16OffsetCalculatorILi3EjLb0EEiEEviPT_PKS4_S7_T0_T1_S9_S9_
	.p2align	8
	.type	_ZN2at6native12cross_kernelIs16OffsetCalculatorILi3EjLb0EEiEEviPT_PKS4_S7_T0_T1_S9_S9_,@function
_ZN2at6native12cross_kernelIs16OffsetCalculatorILi3EjLb0EEiEEviPT_PKS4_S7_T0_T1_S9_S9_: ; @_ZN2at6native12cross_kernelIs16OffsetCalculatorILi3EjLb0EEiEEviPT_PKS4_S7_T0_T1_S9_S9_
; %bb.0:
	s_load_dword s24, s[4:5], 0x0
	s_load_dword s2, s[4:5], 0x1bc
	v_mov_b32_e32 v1, 0
	v_mov_b32_e32 v2, s6
	s_waitcnt lgkmcnt(0)
	s_ashr_i32 s25, s24, 31
	s_add_u32 s0, s4, 0x1b0
	s_addc_u32 s1, s5, 0
	s_and_b32 s2, s2, 0xffff
	v_mad_u64_u32 v[2:3], s[6:7], s2, v2, v[0:1]
	v_cmp_gt_i64_e32 vcc, s[24:25], v[2:3]
	s_and_saveexec_b64 s[6:7], vcc
	s_cbranch_execz .LBB9_13
; %bb.1:
	s_load_dwordx8 s[8:15], s[4:5], 0x20
	s_load_dwordx4 s[16:19], s[4:5], 0x8
	s_load_dwordx2 s[28:29], s[4:5], 0x18
	s_load_dwordx4 s[40:43], s[4:5], 0x1a4
	s_load_dword s3, s[0:1], 0x0
	s_waitcnt lgkmcnt(0)
	v_sub_co_u32_e64 v0, s[0:1], s8, 1
	s_add_u32 s26, s4, 8
	v_readfirstlane_b32 s6, v0
	s_addc_u32 s27, s5, 0
	s_xor_b64 s[0:1], s[0:1], -1
	s_min_u32 s33, s6, 15
	s_cmp_gt_u32 s8, 1
	s_cselect_b64 s[34:35], -1, 0
	s_mov_b32 s8, s13
	s_lshl_b32 s6, s42, 1
	s_mul_i32 s13, s3, s2
	s_add_i32 s2, s33, 1
	s_load_dwordx4 s[20:23], s[4:5], 0xe4
	s_load_dwordx2 s[30:31], s[4:5], 0xf4
	s_ashr_i32 s5, s41, 31
	s_mov_b32 s4, s41
	s_ashr_i32 s7, s6, 31
	s_ashr_i32 s41, s40, 31
	s_and_b32 s15, s2, 30
	s_bitcmp0_b32 s33, 0
	s_cselect_b64 s[2:3], -1, 0
	s_ashr_i32 s43, s42, 31
	s_lshl_b64 s[36:37], s[4:5], 1
	s_lshl_b64 s[4:5], s[42:43], 1
	v_cmp_lt_u32_e32 vcc, 1, v0
	s_sub_u32 s33, 0, s4
	v_cndmask_b32_e64 v0, 0, 1, vcc
	v_cndmask_b32_e64 v4, 0, 1, s[0:1]
	v_cndmask_b32_e64 v5, 0, 1, s[2:3]
	s_mov_b64 s[38:39], 0
	s_subb_u32 s44, 0, s5
	s_lshl_b64 s[40:41], s[40:41], 1
	s_lshl_b64 s[42:43], s[6:7], 1
	v_cmp_ne_u32_e64 s[0:1], 1, v0
	v_cmp_ne_u32_e64 s[2:3], 1, v4
	;; [unrolled: 1-line block ×3, first 2 shown]
	s_branch .LBB9_3
.LBB9_2:                                ;   in Loop: Header=BB9_3 Depth=1
	v_mov_b32_e32 v7, v1
	v_lshlrev_b64 v[5:6], 1, v[6:7]
	v_mov_b32_e32 v8, s19
	v_add_co_u32_e32 v7, vcc, s18, v5
	v_mov_b32_e32 v5, v1
	v_lshlrev_b64 v[4:5], 1, v[4:5]
	v_addc_co_u32_e32 v8, vcc, v8, v6, vcc
	v_mov_b32_e32 v6, s29
	v_add_co_u32_e32 v4, vcc, s28, v4
	v_addc_co_u32_e32 v5, vcc, v6, v5, vcc
	v_mov_b32_e32 v6, s37
	v_add_co_u32_e32 v9, vcc, s36, v7
	;; [unrolled: 3-line block ×3, first 2 shown]
	v_addc_co_u32_e32 v12, vcc, v5, v12, vcc
	global_load_ushort v13, v[9:10], off
	v_add_co_u32_e32 v9, vcc, s36, v9
	v_addc_co_u32_e32 v10, vcc, v10, v6, vcc
	global_load_ushort v15, v[9:10], off
	v_mov_b32_e32 v6, s44
	v_add_co_u32_e32 v9, vcc, s33, v11
	global_load_ushort v14, v[11:12], off
	v_addc_co_u32_e32 v10, vcc, v12, v6, vcc
	global_load_ushort v11, v[7:8], off
	global_load_ushort v12, v[4:5], off
	;; [unrolled: 1-line block ×3, first 2 shown]
	v_lshlrev_b64 v[4:5], 1, v[0:1]
	v_add_co_u32_e32 v2, vcc, s13, v2
	v_mov_b32_e32 v0, s17
	v_addc_co_u32_e32 v3, vcc, 0, v3, vcc
	v_add_co_u32_e64 v4, s[6:7], s16, v4
	v_cmp_le_i64_e32 vcc, s[24:25], v[2:3]
	v_addc_co_u32_e64 v5, s[6:7], v0, v5, s[6:7]
	v_mov_b32_e32 v9, s41
	v_add_co_u32_e64 v6, s[6:7], s40, v4
	v_addc_co_u32_e64 v7, s[6:7], v5, v9, s[6:7]
	s_or_b64 s[38:39], vcc, s[38:39]
	v_add_co_u32_e32 v8, vcc, s40, v6
	v_addc_co_u32_e32 v9, vcc, v7, v9, vcc
	s_waitcnt vmcnt(3)
	v_mul_lo_u16_e32 v0, v14, v13
	s_waitcnt vmcnt(2)
	v_mul_lo_u16_e32 v10, v11, v14
	;; [unrolled: 2-line block ×4, first 2 shown]
	v_mul_lo_u16_e32 v12, v12, v15
	v_mul_lo_u16_e32 v11, v11, v16
	v_sub_u16_e32 v0, v0, v14
	v_sub_u16_e32 v10, v12, v10
	;; [unrolled: 1-line block ×3, first 2 shown]
	global_store_short v[4:5], v0, off
	global_store_short v[6:7], v10, off
	;; [unrolled: 1-line block ×3, first 2 shown]
	s_andn2_b64 exec, exec, s[38:39]
	s_cbranch_execz .LBB9_13
.LBB9_3:                                ; =>This Loop Header: Depth=1
                                        ;     Child Loop BB9_6 Depth 2
	s_and_b64 vcc, exec, s[0:1]
	s_mov_b64 s[6:7], -1
                                        ; implicit-def: $vgpr6
                                        ; implicit-def: $vgpr4
	s_cbranch_vccnz .LBB9_10
; %bb.4:                                ;   in Loop: Header=BB9_3 Depth=1
	v_mov_b32_e32 v0, 0
	s_and_b64 vcc, exec, s[2:3]
	v_mov_b32_e32 v6, 0
	v_mov_b32_e32 v4, 0
	s_cbranch_vccnz .LBB9_9
; %bb.5:                                ;   in Loop: Header=BB9_3 Depth=1
	v_mov_b32_e32 v4, 0
	s_mov_b32 s45, s15
	s_mov_b64 s[6:7], s[26:27]
	v_mov_b32_e32 v6, 0
	v_mov_b32_e32 v0, v4
	;; [unrolled: 1-line block ×3, first 2 shown]
.LBB9_6:                                ;   Parent Loop BB9_3 Depth=1
                                        ; =>  This Inner Loop Header: Depth=2
	s_load_dwordx4 s[48:51], s[6:7], 0x1c
	s_load_dwordx2 s[46:47], s[6:7], 0x2c
	s_load_dwordx2 s[56:57], s[6:7], 0xec
	s_load_dwordx4 s[52:55], s[6:7], 0xdc
	s_add_u32 s6, s6, 24
	s_waitcnt lgkmcnt(0)
	v_mul_hi_u32 v7, s49, v5
	s_addc_u32 s7, s7, 0
	s_add_i32 s45, s45, -2
	s_cmp_lg_u32 s45, 0
	v_add_u32_e32 v7, v5, v7
	v_lshrrev_b32_e32 v7, s50, v7
	v_mul_lo_u32 v8, v7, s48
	v_mul_hi_u32 v9, s46, v7
	v_sub_u32_e32 v8, v5, v8
	v_add_u32_e32 v5, v7, v9
	v_lshrrev_b32_e32 v5, s47, v5
	v_mul_lo_u32 v11, v5, s51
	v_mul_lo_u32 v9, v8, s52
	;; [unrolled: 1-line block ×4, first 2 shown]
	v_sub_u32_e32 v7, v7, v11
	v_mul_lo_u32 v11, v7, s55
	v_mul_lo_u32 v12, v7, s56
	;; [unrolled: 1-line block ×3, first 2 shown]
	v_add3_u32 v0, v9, v0, v11
	v_add3_u32 v6, v10, v6, v12
	v_add3_u32 v4, v8, v4, v7
	s_cbranch_scc1 .LBB9_6
; %bb.7:                                ;   in Loop: Header=BB9_3 Depth=1
	s_and_b64 vcc, exec, s[4:5]
	s_cbranch_vccnz .LBB9_9
; %bb.8:                                ;   in Loop: Header=BB9_3 Depth=1
	s_load_dwordx2 s[46:47], s[6:7], 0x1c
	s_load_dword s45, s[6:7], 0x24
	s_load_dwordx2 s[48:49], s[6:7], 0xdc
	s_waitcnt lgkmcnt(0)
	v_mul_hi_u32 v7, s47, v5
	v_add_u32_e32 v7, v5, v7
	v_lshrrev_b32_e32 v7, s45, v7
	v_mul_lo_u32 v7, v7, s46
	s_load_dword s45, s[6:7], 0xe4
	v_sub_u32_e32 v5, v5, v7
	v_mad_u64_u32 v[8:9], s[6:7], v5, s48, v[0:1]
	v_mad_u64_u32 v[6:7], s[6:7], v5, s49, v[6:7]
	s_waitcnt lgkmcnt(0)
	v_mad_u64_u32 v[4:5], s[6:7], v5, s45, v[4:5]
	v_mov_b32_e32 v0, v8
.LBB9_9:                                ;   in Loop: Header=BB9_3 Depth=1
	s_mov_b64 s[6:7], 0
.LBB9_10:                               ;   in Loop: Header=BB9_3 Depth=1
	s_andn2_b64 vcc, exec, s[6:7]
	s_cbranch_vccnz .LBB9_2
; %bb.11:                               ;   in Loop: Header=BB9_3 Depth=1
	v_mul_lo_u32 v0, v3, s10
	v_mul_hi_u32 v4, v2, s10
	s_andn2_b64 vcc, exec, s[34:35]
	v_add3_u32 v0, v4, v0, v2
	v_lshrrev_b32_e32 v5, s11, v0
	v_mul_lo_u32 v0, v5, s9
	v_sub_u32_e32 v4, v2, v0
	s_waitcnt lgkmcnt(0)
	v_mul_lo_u32 v0, v4, s20
	v_mul_lo_u32 v6, v4, s21
	;; [unrolled: 1-line block ×3, first 2 shown]
	s_cbranch_vccnz .LBB9_2
; %bb.12:                               ;   in Loop: Header=BB9_3 Depth=1
	v_mul_hi_u32 v7, s8, v5
	v_add_u32_e32 v7, v5, v7
	v_lshrrev_b32_e32 v7, s14, v7
	v_mul_lo_u32 v7, v7, s12
	v_sub_u32_e32 v5, v5, v7
	v_mad_u64_u32 v[8:9], s[6:7], v5, s23, v[0:1]
	v_mad_u64_u32 v[6:7], s[6:7], v5, s30, v[6:7]
	;; [unrolled: 1-line block ×3, first 2 shown]
	v_mov_b32_e32 v0, v8
	s_branch .LBB9_2
.LBB9_13:
	s_endpgm
	.section	.rodata,"a",@progbits
	.p2align	6, 0x0
	.amdhsa_kernel _ZN2at6native12cross_kernelIs16OffsetCalculatorILi3EjLb0EEiEEviPT_PKS4_S7_T0_T1_S9_S9_
		.amdhsa_group_segment_fixed_size 0
		.amdhsa_private_segment_fixed_size 0
		.amdhsa_kernarg_size 688
		.amdhsa_user_sgpr_count 6
		.amdhsa_user_sgpr_private_segment_buffer 1
		.amdhsa_user_sgpr_dispatch_ptr 0
		.amdhsa_user_sgpr_queue_ptr 0
		.amdhsa_user_sgpr_kernarg_segment_ptr 1
		.amdhsa_user_sgpr_dispatch_id 0
		.amdhsa_user_sgpr_flat_scratch_init 0
		.amdhsa_user_sgpr_private_segment_size 0
		.amdhsa_uses_dynamic_stack 0
		.amdhsa_system_sgpr_private_segment_wavefront_offset 0
		.amdhsa_system_sgpr_workgroup_id_x 1
		.amdhsa_system_sgpr_workgroup_id_y 0
		.amdhsa_system_sgpr_workgroup_id_z 0
		.amdhsa_system_sgpr_workgroup_info 0
		.amdhsa_system_vgpr_workitem_id 0
		.amdhsa_next_free_vgpr 17
		.amdhsa_next_free_sgpr 58
		.amdhsa_reserve_vcc 1
		.amdhsa_reserve_flat_scratch 0
		.amdhsa_float_round_mode_32 0
		.amdhsa_float_round_mode_16_64 0
		.amdhsa_float_denorm_mode_32 3
		.amdhsa_float_denorm_mode_16_64 3
		.amdhsa_dx10_clamp 1
		.amdhsa_ieee_mode 1
		.amdhsa_fp16_overflow 0
		.amdhsa_exception_fp_ieee_invalid_op 0
		.amdhsa_exception_fp_denorm_src 0
		.amdhsa_exception_fp_ieee_div_zero 0
		.amdhsa_exception_fp_ieee_overflow 0
		.amdhsa_exception_fp_ieee_underflow 0
		.amdhsa_exception_fp_ieee_inexact 0
		.amdhsa_exception_int_div_zero 0
	.end_amdhsa_kernel
	.section	.text._ZN2at6native12cross_kernelIs16OffsetCalculatorILi3EjLb0EEiEEviPT_PKS4_S7_T0_T1_S9_S9_,"axG",@progbits,_ZN2at6native12cross_kernelIs16OffsetCalculatorILi3EjLb0EEiEEviPT_PKS4_S7_T0_T1_S9_S9_,comdat
.Lfunc_end9:
	.size	_ZN2at6native12cross_kernelIs16OffsetCalculatorILi3EjLb0EEiEEviPT_PKS4_S7_T0_T1_S9_S9_, .Lfunc_end9-_ZN2at6native12cross_kernelIs16OffsetCalculatorILi3EjLb0EEiEEviPT_PKS4_S7_T0_T1_S9_S9_
                                        ; -- End function
	.set _ZN2at6native12cross_kernelIs16OffsetCalculatorILi3EjLb0EEiEEviPT_PKS4_S7_T0_T1_S9_S9_.num_vgpr, 17
	.set _ZN2at6native12cross_kernelIs16OffsetCalculatorILi3EjLb0EEiEEviPT_PKS4_S7_T0_T1_S9_S9_.num_agpr, 0
	.set _ZN2at6native12cross_kernelIs16OffsetCalculatorILi3EjLb0EEiEEviPT_PKS4_S7_T0_T1_S9_S9_.numbered_sgpr, 58
	.set _ZN2at6native12cross_kernelIs16OffsetCalculatorILi3EjLb0EEiEEviPT_PKS4_S7_T0_T1_S9_S9_.num_named_barrier, 0
	.set _ZN2at6native12cross_kernelIs16OffsetCalculatorILi3EjLb0EEiEEviPT_PKS4_S7_T0_T1_S9_S9_.private_seg_size, 0
	.set _ZN2at6native12cross_kernelIs16OffsetCalculatorILi3EjLb0EEiEEviPT_PKS4_S7_T0_T1_S9_S9_.uses_vcc, 1
	.set _ZN2at6native12cross_kernelIs16OffsetCalculatorILi3EjLb0EEiEEviPT_PKS4_S7_T0_T1_S9_S9_.uses_flat_scratch, 0
	.set _ZN2at6native12cross_kernelIs16OffsetCalculatorILi3EjLb0EEiEEviPT_PKS4_S7_T0_T1_S9_S9_.has_dyn_sized_stack, 0
	.set _ZN2at6native12cross_kernelIs16OffsetCalculatorILi3EjLb0EEiEEviPT_PKS4_S7_T0_T1_S9_S9_.has_recursion, 0
	.set _ZN2at6native12cross_kernelIs16OffsetCalculatorILi3EjLb0EEiEEviPT_PKS4_S7_T0_T1_S9_S9_.has_indirect_call, 0
	.section	.AMDGPU.csdata,"",@progbits
; Kernel info:
; codeLenInByte = 1092
; TotalNumSgprs: 62
; NumVgprs: 17
; ScratchSize: 0
; MemoryBound: 0
; FloatMode: 240
; IeeeMode: 1
; LDSByteSize: 0 bytes/workgroup (compile time only)
; SGPRBlocks: 7
; VGPRBlocks: 4
; NumSGPRsForWavesPerEU: 62
; NumVGPRsForWavesPerEU: 17
; Occupancy: 10
; WaveLimiterHint : 1
; COMPUTE_PGM_RSRC2:SCRATCH_EN: 0
; COMPUTE_PGM_RSRC2:USER_SGPR: 6
; COMPUTE_PGM_RSRC2:TRAP_HANDLER: 0
; COMPUTE_PGM_RSRC2:TGID_X_EN: 1
; COMPUTE_PGM_RSRC2:TGID_Y_EN: 0
; COMPUTE_PGM_RSRC2:TGID_Z_EN: 0
; COMPUTE_PGM_RSRC2:TIDIG_COMP_CNT: 0
	.section	.text._ZN2at6native12cross_kernelId16OffsetCalculatorILi3EjLb0EElEEviPT_PKS4_S7_T0_T1_S9_S9_,"axG",@progbits,_ZN2at6native12cross_kernelId16OffsetCalculatorILi3EjLb0EElEEviPT_PKS4_S7_T0_T1_S9_S9_,comdat
	.protected	_ZN2at6native12cross_kernelId16OffsetCalculatorILi3EjLb0EElEEviPT_PKS4_S7_T0_T1_S9_S9_ ; -- Begin function _ZN2at6native12cross_kernelId16OffsetCalculatorILi3EjLb0EElEEviPT_PKS4_S7_T0_T1_S9_S9_
	.globl	_ZN2at6native12cross_kernelId16OffsetCalculatorILi3EjLb0EElEEviPT_PKS4_S7_T0_T1_S9_S9_
	.p2align	8
	.type	_ZN2at6native12cross_kernelId16OffsetCalculatorILi3EjLb0EElEEviPT_PKS4_S7_T0_T1_S9_S9_,@function
_ZN2at6native12cross_kernelId16OffsetCalculatorILi3EjLb0EElEEviPT_PKS4_S7_T0_T1_S9_S9_: ; @_ZN2at6native12cross_kernelId16OffsetCalculatorILi3EjLb0EElEEviPT_PKS4_S7_T0_T1_S9_S9_
; %bb.0:
	s_load_dword s24, s[4:5], 0x0
	s_load_dword s2, s[4:5], 0x1cc
	v_mov_b32_e32 v1, 0
	v_mov_b32_e32 v2, s6
	s_waitcnt lgkmcnt(0)
	s_ashr_i32 s25, s24, 31
	s_add_u32 s0, s4, 0x1c0
	s_addc_u32 s1, s5, 0
	s_and_b32 s2, s2, 0xffff
	v_mad_u64_u32 v[2:3], s[6:7], s2, v2, v[0:1]
	v_cmp_gt_i64_e32 vcc, s[24:25], v[2:3]
	s_and_saveexec_b64 s[6:7], vcc
	s_cbranch_execz .LBB10_13
; %bb.1:
	s_load_dwordx4 s[16:19], s[4:5], 0x8
	s_load_dwordx2 s[28:29], s[4:5], 0x18
	s_load_dwordx8 s[8:15], s[4:5], 0x20
	s_load_dwordx2 s[6:7], s[4:5], 0x1b8
	s_load_dwordx4 s[48:51], s[4:5], 0x1a8
	s_load_dword s3, s[0:1], 0x0
	s_add_u32 s26, s4, 8
	s_waitcnt lgkmcnt(0)
	v_sub_co_u32_e64 v0, s[0:1], s8, 1
	v_readfirstlane_b32 s15, v0
	s_addc_u32 s27, s5, 0
	s_xor_b64 s[0:1], s[0:1], -1
	s_min_u32 s33, s15, 15
	s_cmp_gt_u32 s8, 1
	s_cselect_b64 s[34:35], -1, 0
	s_mov_b32 s8, s13
	s_mul_i32 s13, s3, s2
	s_add_i32 s2, s33, 1
	s_load_dwordx4 s[20:23], s[4:5], 0xe4
	s_load_dwordx2 s[30:31], s[4:5], 0xf4
	s_lshl_b64 s[36:37], s[6:7], 4
	s_and_b32 s15, s2, 30
	s_bitcmp0_b32 s33, 0
	s_cselect_b64 s[2:3], -1, 0
	s_lshl_b64 s[38:39], s[50:51], 3
	s_lshl_b64 s[4:5], s[6:7], 3
	v_cmp_lt_u32_e32 vcc, 1, v0
	s_sub_u32 s33, 0, s4
	v_cndmask_b32_e64 v0, 0, 1, vcc
	v_cndmask_b32_e64 v4, 0, 1, s[0:1]
	v_cndmask_b32_e64 v5, 0, 1, s[2:3]
	s_mov_b64 s[40:41], 0
	s_subb_u32 s44, 0, s5
	s_lshl_b64 s[42:43], s[48:49], 3
	v_cmp_ne_u32_e64 s[0:1], 1, v0
	v_cmp_ne_u32_e64 s[2:3], 1, v4
	;; [unrolled: 1-line block ×3, first 2 shown]
	s_branch .LBB10_3
.LBB10_2:                               ;   in Loop: Header=BB10_3 Depth=1
	v_mov_b32_e32 v7, v1
	v_lshlrev_b64 v[5:6], 3, v[6:7]
	v_mov_b32_e32 v8, s19
	v_add_co_u32_e32 v7, vcc, s18, v5
	v_mov_b32_e32 v5, v1
	v_lshlrev_b64 v[4:5], 3, v[4:5]
	v_addc_co_u32_e32 v8, vcc, v8, v6, vcc
	v_mov_b32_e32 v6, s29
	v_add_co_u32_e32 v4, vcc, s28, v4
	v_addc_co_u32_e32 v5, vcc, v6, v5, vcc
	v_mov_b32_e32 v6, s39
	v_add_co_u32_e32 v9, vcc, s38, v7
	;; [unrolled: 3-line block ×3, first 2 shown]
	v_addc_co_u32_e32 v12, vcc, v5, v12, vcc
	v_add_co_u32_e32 v15, vcc, s38, v9
	v_addc_co_u32_e32 v16, vcc, v10, v6, vcc
	global_load_dwordx2 v[13:14], v[11:12], off
	v_mov_b32_e32 v17, s44
	global_load_dwordx2 v[15:16], v[15:16], off
	v_add_co_u32_e32 v11, vcc, s33, v11
	v_addc_co_u32_e32 v12, vcc, v12, v17, vcc
	global_load_dwordx2 v[6:7], v[7:8], off
	s_nop 0
	global_load_dwordx2 v[17:18], v[11:12], off
	global_load_dwordx2 v[19:20], v[4:5], off
	;; [unrolled: 1-line block ×3, first 2 shown]
	v_lshlrev_b64 v[10:11], 3, v[0:1]
	v_add_co_u32_e32 v2, vcc, s13, v2
	v_mov_b32_e32 v0, s17
	v_addc_co_u32_e32 v3, vcc, 0, v3, vcc
	v_add_co_u32_e64 v10, s[6:7], s16, v10
	v_cmp_le_i64_e32 vcc, s[24:25], v[2:3]
	v_addc_co_u32_e64 v11, s[6:7], v0, v11, s[6:7]
	s_or_b64 s[40:41], vcc, s[40:41]
	s_waitcnt vmcnt(2)
	v_mul_f64 v[8:9], v[15:16], v[17:18]
	v_mul_f64 v[4:5], v[13:14], v[6:7]
	s_waitcnt vmcnt(0)
	v_fma_f64 v[8:9], v[21:22], v[13:14], -v[8:9]
	v_mul_f64 v[12:13], v[21:22], v[19:20]
	v_fma_f64 v[4:5], v[15:16], v[19:20], -v[4:5]
	v_mov_b32_e32 v16, s43
	v_add_co_u32_e64 v14, s[6:7], s42, v10
	v_addc_co_u32_e64 v15, s[6:7], v11, v16, s[6:7]
	v_fma_f64 v[6:7], v[17:18], v[6:7], -v[12:13]
	v_add_co_u32_e32 v12, vcc, s42, v14
	v_addc_co_u32_e32 v13, vcc, v15, v16, vcc
	global_store_dwordx2 v[10:11], v[8:9], off
	global_store_dwordx2 v[14:15], v[4:5], off
	;; [unrolled: 1-line block ×3, first 2 shown]
	s_andn2_b64 exec, exec, s[40:41]
	s_cbranch_execz .LBB10_13
.LBB10_3:                               ; =>This Loop Header: Depth=1
                                        ;     Child Loop BB10_6 Depth 2
	s_and_b64 vcc, exec, s[0:1]
	s_mov_b64 s[6:7], -1
                                        ; implicit-def: $vgpr6
                                        ; implicit-def: $vgpr4
	s_cbranch_vccnz .LBB10_10
; %bb.4:                                ;   in Loop: Header=BB10_3 Depth=1
	v_mov_b32_e32 v0, 0
	s_and_b64 vcc, exec, s[2:3]
	v_mov_b32_e32 v6, 0
	v_mov_b32_e32 v4, 0
	s_cbranch_vccnz .LBB10_9
; %bb.5:                                ;   in Loop: Header=BB10_3 Depth=1
	v_mov_b32_e32 v4, 0
	s_mov_b32 s45, s15
	s_mov_b64 s[6:7], s[26:27]
	v_mov_b32_e32 v6, 0
	v_mov_b32_e32 v0, v4
	;; [unrolled: 1-line block ×3, first 2 shown]
.LBB10_6:                               ;   Parent Loop BB10_3 Depth=1
                                        ; =>  This Inner Loop Header: Depth=2
	s_load_dwordx4 s[48:51], s[6:7], 0x1c
	s_load_dwordx2 s[46:47], s[6:7], 0x2c
	s_load_dwordx2 s[56:57], s[6:7], 0xec
	s_load_dwordx4 s[52:55], s[6:7], 0xdc
	s_add_u32 s6, s6, 24
	s_waitcnt lgkmcnt(0)
	v_mul_hi_u32 v7, s49, v5
	s_addc_u32 s7, s7, 0
	s_add_i32 s45, s45, -2
	s_cmp_lg_u32 s45, 0
	v_add_u32_e32 v7, v5, v7
	v_lshrrev_b32_e32 v7, s50, v7
	v_mul_lo_u32 v8, v7, s48
	v_mul_hi_u32 v9, s46, v7
	v_sub_u32_e32 v8, v5, v8
	v_add_u32_e32 v5, v7, v9
	v_lshrrev_b32_e32 v5, s47, v5
	v_mul_lo_u32 v11, v5, s51
	v_mul_lo_u32 v9, v8, s52
	;; [unrolled: 1-line block ×4, first 2 shown]
	v_sub_u32_e32 v7, v7, v11
	v_mul_lo_u32 v11, v7, s55
	v_mul_lo_u32 v12, v7, s56
	;; [unrolled: 1-line block ×3, first 2 shown]
	v_add3_u32 v0, v9, v0, v11
	v_add3_u32 v6, v10, v6, v12
	;; [unrolled: 1-line block ×3, first 2 shown]
	s_cbranch_scc1 .LBB10_6
; %bb.7:                                ;   in Loop: Header=BB10_3 Depth=1
	s_and_b64 vcc, exec, s[4:5]
	s_cbranch_vccnz .LBB10_9
; %bb.8:                                ;   in Loop: Header=BB10_3 Depth=1
	s_load_dwordx2 s[46:47], s[6:7], 0x1c
	s_load_dword s45, s[6:7], 0x24
	s_load_dwordx2 s[48:49], s[6:7], 0xdc
	s_waitcnt lgkmcnt(0)
	v_mul_hi_u32 v7, s47, v5
	v_add_u32_e32 v7, v5, v7
	v_lshrrev_b32_e32 v7, s45, v7
	v_mul_lo_u32 v7, v7, s46
	s_load_dword s45, s[6:7], 0xe4
	v_sub_u32_e32 v5, v5, v7
	v_mad_u64_u32 v[8:9], s[6:7], v5, s48, v[0:1]
	v_mad_u64_u32 v[6:7], s[6:7], v5, s49, v[6:7]
	s_waitcnt lgkmcnt(0)
	v_mad_u64_u32 v[4:5], s[6:7], v5, s45, v[4:5]
	v_mov_b32_e32 v0, v8
.LBB10_9:                               ;   in Loop: Header=BB10_3 Depth=1
	s_mov_b64 s[6:7], 0
.LBB10_10:                              ;   in Loop: Header=BB10_3 Depth=1
	s_andn2_b64 vcc, exec, s[6:7]
	s_cbranch_vccnz .LBB10_2
; %bb.11:                               ;   in Loop: Header=BB10_3 Depth=1
	v_mul_lo_u32 v0, v3, s10
	v_mul_hi_u32 v4, v2, s10
	s_andn2_b64 vcc, exec, s[34:35]
	v_add3_u32 v0, v4, v0, v2
	v_lshrrev_b32_e32 v5, s11, v0
	v_mul_lo_u32 v0, v5, s9
	v_sub_u32_e32 v4, v2, v0
	s_waitcnt lgkmcnt(0)
	v_mul_lo_u32 v0, v4, s20
	v_mul_lo_u32 v6, v4, s21
	;; [unrolled: 1-line block ×3, first 2 shown]
	s_cbranch_vccnz .LBB10_2
; %bb.12:                               ;   in Loop: Header=BB10_3 Depth=1
	v_mul_hi_u32 v7, s8, v5
	v_add_u32_e32 v7, v5, v7
	v_lshrrev_b32_e32 v7, s14, v7
	v_mul_lo_u32 v7, v7, s12
	v_sub_u32_e32 v5, v5, v7
	v_mad_u64_u32 v[8:9], s[6:7], v5, s23, v[0:1]
	v_mad_u64_u32 v[6:7], s[6:7], v5, s30, v[6:7]
	;; [unrolled: 1-line block ×3, first 2 shown]
	v_mov_b32_e32 v0, v8
	s_branch .LBB10_2
.LBB10_13:
	s_endpgm
	.section	.rodata,"a",@progbits
	.p2align	6, 0x0
	.amdhsa_kernel _ZN2at6native12cross_kernelId16OffsetCalculatorILi3EjLb0EElEEviPT_PKS4_S7_T0_T1_S9_S9_
		.amdhsa_group_segment_fixed_size 0
		.amdhsa_private_segment_fixed_size 0
		.amdhsa_kernarg_size 704
		.amdhsa_user_sgpr_count 6
		.amdhsa_user_sgpr_private_segment_buffer 1
		.amdhsa_user_sgpr_dispatch_ptr 0
		.amdhsa_user_sgpr_queue_ptr 0
		.amdhsa_user_sgpr_kernarg_segment_ptr 1
		.amdhsa_user_sgpr_dispatch_id 0
		.amdhsa_user_sgpr_flat_scratch_init 0
		.amdhsa_user_sgpr_private_segment_size 0
		.amdhsa_uses_dynamic_stack 0
		.amdhsa_system_sgpr_private_segment_wavefront_offset 0
		.amdhsa_system_sgpr_workgroup_id_x 1
		.amdhsa_system_sgpr_workgroup_id_y 0
		.amdhsa_system_sgpr_workgroup_id_z 0
		.amdhsa_system_sgpr_workgroup_info 0
		.amdhsa_system_vgpr_workitem_id 0
		.amdhsa_next_free_vgpr 23
		.amdhsa_next_free_sgpr 58
		.amdhsa_reserve_vcc 1
		.amdhsa_reserve_flat_scratch 0
		.amdhsa_float_round_mode_32 0
		.amdhsa_float_round_mode_16_64 0
		.amdhsa_float_denorm_mode_32 3
		.amdhsa_float_denorm_mode_16_64 3
		.amdhsa_dx10_clamp 1
		.amdhsa_ieee_mode 1
		.amdhsa_fp16_overflow 0
		.amdhsa_exception_fp_ieee_invalid_op 0
		.amdhsa_exception_fp_denorm_src 0
		.amdhsa_exception_fp_ieee_div_zero 0
		.amdhsa_exception_fp_ieee_overflow 0
		.amdhsa_exception_fp_ieee_underflow 0
		.amdhsa_exception_fp_ieee_inexact 0
		.amdhsa_exception_int_div_zero 0
	.end_amdhsa_kernel
	.section	.text._ZN2at6native12cross_kernelId16OffsetCalculatorILi3EjLb0EElEEviPT_PKS4_S7_T0_T1_S9_S9_,"axG",@progbits,_ZN2at6native12cross_kernelId16OffsetCalculatorILi3EjLb0EElEEviPT_PKS4_S7_T0_T1_S9_S9_,comdat
.Lfunc_end10:
	.size	_ZN2at6native12cross_kernelId16OffsetCalculatorILi3EjLb0EElEEviPT_PKS4_S7_T0_T1_S9_S9_, .Lfunc_end10-_ZN2at6native12cross_kernelId16OffsetCalculatorILi3EjLb0EElEEviPT_PKS4_S7_T0_T1_S9_S9_
                                        ; -- End function
	.set _ZN2at6native12cross_kernelId16OffsetCalculatorILi3EjLb0EElEEviPT_PKS4_S7_T0_T1_S9_S9_.num_vgpr, 23
	.set _ZN2at6native12cross_kernelId16OffsetCalculatorILi3EjLb0EElEEviPT_PKS4_S7_T0_T1_S9_S9_.num_agpr, 0
	.set _ZN2at6native12cross_kernelId16OffsetCalculatorILi3EjLb0EElEEviPT_PKS4_S7_T0_T1_S9_S9_.numbered_sgpr, 58
	.set _ZN2at6native12cross_kernelId16OffsetCalculatorILi3EjLb0EElEEviPT_PKS4_S7_T0_T1_S9_S9_.num_named_barrier, 0
	.set _ZN2at6native12cross_kernelId16OffsetCalculatorILi3EjLb0EElEEviPT_PKS4_S7_T0_T1_S9_S9_.private_seg_size, 0
	.set _ZN2at6native12cross_kernelId16OffsetCalculatorILi3EjLb0EElEEviPT_PKS4_S7_T0_T1_S9_S9_.uses_vcc, 1
	.set _ZN2at6native12cross_kernelId16OffsetCalculatorILi3EjLb0EElEEviPT_PKS4_S7_T0_T1_S9_S9_.uses_flat_scratch, 0
	.set _ZN2at6native12cross_kernelId16OffsetCalculatorILi3EjLb0EElEEviPT_PKS4_S7_T0_T1_S9_S9_.has_dyn_sized_stack, 0
	.set _ZN2at6native12cross_kernelId16OffsetCalculatorILi3EjLb0EElEEviPT_PKS4_S7_T0_T1_S9_S9_.has_recursion, 0
	.set _ZN2at6native12cross_kernelId16OffsetCalculatorILi3EjLb0EElEEviPT_PKS4_S7_T0_T1_S9_S9_.has_indirect_call, 0
	.section	.AMDGPU.csdata,"",@progbits
; Kernel info:
; codeLenInByte = 1084
; TotalNumSgprs: 62
; NumVgprs: 23
; ScratchSize: 0
; MemoryBound: 0
; FloatMode: 240
; IeeeMode: 1
; LDSByteSize: 0 bytes/workgroup (compile time only)
; SGPRBlocks: 7
; VGPRBlocks: 5
; NumSGPRsForWavesPerEU: 62
; NumVGPRsForWavesPerEU: 23
; Occupancy: 10
; WaveLimiterHint : 1
; COMPUTE_PGM_RSRC2:SCRATCH_EN: 0
; COMPUTE_PGM_RSRC2:USER_SGPR: 6
; COMPUTE_PGM_RSRC2:TRAP_HANDLER: 0
; COMPUTE_PGM_RSRC2:TGID_X_EN: 1
; COMPUTE_PGM_RSRC2:TGID_Y_EN: 0
; COMPUTE_PGM_RSRC2:TGID_Z_EN: 0
; COMPUTE_PGM_RSRC2:TIDIG_COMP_CNT: 0
	.section	.text._ZN2at6native12cross_kernelId16OffsetCalculatorILi3EjLb0EEiEEviPT_PKS4_S7_T0_T1_S9_S9_,"axG",@progbits,_ZN2at6native12cross_kernelId16OffsetCalculatorILi3EjLb0EEiEEviPT_PKS4_S7_T0_T1_S9_S9_,comdat
	.protected	_ZN2at6native12cross_kernelId16OffsetCalculatorILi3EjLb0EEiEEviPT_PKS4_S7_T0_T1_S9_S9_ ; -- Begin function _ZN2at6native12cross_kernelId16OffsetCalculatorILi3EjLb0EEiEEviPT_PKS4_S7_T0_T1_S9_S9_
	.globl	_ZN2at6native12cross_kernelId16OffsetCalculatorILi3EjLb0EEiEEviPT_PKS4_S7_T0_T1_S9_S9_
	.p2align	8
	.type	_ZN2at6native12cross_kernelId16OffsetCalculatorILi3EjLb0EEiEEviPT_PKS4_S7_T0_T1_S9_S9_,@function
_ZN2at6native12cross_kernelId16OffsetCalculatorILi3EjLb0EEiEEviPT_PKS4_S7_T0_T1_S9_S9_: ; @_ZN2at6native12cross_kernelId16OffsetCalculatorILi3EjLb0EEiEEviPT_PKS4_S7_T0_T1_S9_S9_
; %bb.0:
	s_load_dword s24, s[4:5], 0x0
	s_load_dword s2, s[4:5], 0x1bc
	v_mov_b32_e32 v1, 0
	v_mov_b32_e32 v2, s6
	s_waitcnt lgkmcnt(0)
	s_ashr_i32 s25, s24, 31
	s_add_u32 s0, s4, 0x1b0
	s_addc_u32 s1, s5, 0
	s_and_b32 s2, s2, 0xffff
	v_mad_u64_u32 v[2:3], s[6:7], s2, v2, v[0:1]
	v_cmp_gt_i64_e32 vcc, s[24:25], v[2:3]
	s_and_saveexec_b64 s[6:7], vcc
	s_cbranch_execz .LBB11_13
; %bb.1:
	s_load_dwordx8 s[8:15], s[4:5], 0x20
	s_load_dwordx4 s[16:19], s[4:5], 0x8
	s_load_dwordx2 s[28:29], s[4:5], 0x18
	s_load_dwordx4 s[40:43], s[4:5], 0x1a4
	s_load_dword s3, s[0:1], 0x0
	s_waitcnt lgkmcnt(0)
	v_sub_co_u32_e64 v0, s[0:1], s8, 1
	s_add_u32 s26, s4, 8
	v_readfirstlane_b32 s6, v0
	s_addc_u32 s27, s5, 0
	s_xor_b64 s[0:1], s[0:1], -1
	s_min_u32 s33, s6, 15
	s_cmp_gt_u32 s8, 1
	s_cselect_b64 s[34:35], -1, 0
	s_mov_b32 s8, s13
	s_lshl_b32 s6, s42, 1
	s_mul_i32 s13, s3, s2
	s_add_i32 s2, s33, 1
	s_load_dwordx4 s[20:23], s[4:5], 0xe4
	s_load_dwordx2 s[30:31], s[4:5], 0xf4
	s_ashr_i32 s5, s41, 31
	s_mov_b32 s4, s41
	s_ashr_i32 s7, s6, 31
	s_ashr_i32 s41, s40, 31
	s_and_b32 s15, s2, 30
	s_bitcmp0_b32 s33, 0
	s_cselect_b64 s[2:3], -1, 0
	s_ashr_i32 s43, s42, 31
	s_lshl_b64 s[36:37], s[4:5], 3
	s_lshl_b64 s[4:5], s[42:43], 3
	v_cmp_lt_u32_e32 vcc, 1, v0
	s_sub_u32 s33, 0, s4
	v_cndmask_b32_e64 v0, 0, 1, vcc
	v_cndmask_b32_e64 v4, 0, 1, s[0:1]
	v_cndmask_b32_e64 v5, 0, 1, s[2:3]
	s_mov_b64 s[38:39], 0
	s_subb_u32 s44, 0, s5
	s_lshl_b64 s[40:41], s[40:41], 3
	s_lshl_b64 s[42:43], s[6:7], 3
	v_cmp_ne_u32_e64 s[0:1], 1, v0
	v_cmp_ne_u32_e64 s[2:3], 1, v4
	v_cmp_ne_u32_e64 s[4:5], 1, v5
	s_branch .LBB11_3
.LBB11_2:                               ;   in Loop: Header=BB11_3 Depth=1
	v_mov_b32_e32 v7, v1
	v_lshlrev_b64 v[5:6], 3, v[6:7]
	v_mov_b32_e32 v8, s19
	v_add_co_u32_e32 v7, vcc, s18, v5
	v_mov_b32_e32 v5, v1
	v_lshlrev_b64 v[4:5], 3, v[4:5]
	v_addc_co_u32_e32 v8, vcc, v8, v6, vcc
	v_mov_b32_e32 v6, s29
	v_add_co_u32_e32 v4, vcc, s28, v4
	v_addc_co_u32_e32 v5, vcc, v6, v5, vcc
	v_mov_b32_e32 v6, s37
	v_add_co_u32_e32 v9, vcc, s36, v7
	;; [unrolled: 3-line block ×3, first 2 shown]
	v_addc_co_u32_e32 v12, vcc, v5, v12, vcc
	v_add_co_u32_e32 v15, vcc, s36, v9
	v_addc_co_u32_e32 v16, vcc, v10, v6, vcc
	global_load_dwordx2 v[13:14], v[11:12], off
	v_mov_b32_e32 v17, s44
	global_load_dwordx2 v[15:16], v[15:16], off
	v_add_co_u32_e32 v11, vcc, s33, v11
	v_addc_co_u32_e32 v12, vcc, v12, v17, vcc
	global_load_dwordx2 v[6:7], v[7:8], off
	s_nop 0
	global_load_dwordx2 v[17:18], v[11:12], off
	global_load_dwordx2 v[19:20], v[4:5], off
	;; [unrolled: 1-line block ×3, first 2 shown]
	v_lshlrev_b64 v[10:11], 3, v[0:1]
	v_add_co_u32_e32 v2, vcc, s13, v2
	v_mov_b32_e32 v0, s17
	v_addc_co_u32_e32 v3, vcc, 0, v3, vcc
	v_add_co_u32_e64 v10, s[6:7], s16, v10
	v_cmp_le_i64_e32 vcc, s[24:25], v[2:3]
	v_addc_co_u32_e64 v11, s[6:7], v0, v11, s[6:7]
	s_or_b64 s[38:39], vcc, s[38:39]
	s_waitcnt vmcnt(2)
	v_mul_f64 v[8:9], v[15:16], v[17:18]
	v_mul_f64 v[4:5], v[13:14], v[6:7]
	s_waitcnt vmcnt(0)
	v_fma_f64 v[8:9], v[21:22], v[13:14], -v[8:9]
	v_mul_f64 v[12:13], v[21:22], v[19:20]
	v_fma_f64 v[4:5], v[15:16], v[19:20], -v[4:5]
	v_mov_b32_e32 v16, s41
	v_add_co_u32_e64 v14, s[6:7], s40, v10
	v_addc_co_u32_e64 v15, s[6:7], v11, v16, s[6:7]
	v_fma_f64 v[6:7], v[17:18], v[6:7], -v[12:13]
	v_add_co_u32_e32 v12, vcc, s40, v14
	v_addc_co_u32_e32 v13, vcc, v15, v16, vcc
	global_store_dwordx2 v[10:11], v[8:9], off
	global_store_dwordx2 v[14:15], v[4:5], off
	;; [unrolled: 1-line block ×3, first 2 shown]
	s_andn2_b64 exec, exec, s[38:39]
	s_cbranch_execz .LBB11_13
.LBB11_3:                               ; =>This Loop Header: Depth=1
                                        ;     Child Loop BB11_6 Depth 2
	s_and_b64 vcc, exec, s[0:1]
	s_mov_b64 s[6:7], -1
                                        ; implicit-def: $vgpr6
                                        ; implicit-def: $vgpr4
	s_cbranch_vccnz .LBB11_10
; %bb.4:                                ;   in Loop: Header=BB11_3 Depth=1
	v_mov_b32_e32 v0, 0
	s_and_b64 vcc, exec, s[2:3]
	v_mov_b32_e32 v6, 0
	v_mov_b32_e32 v4, 0
	s_cbranch_vccnz .LBB11_9
; %bb.5:                                ;   in Loop: Header=BB11_3 Depth=1
	v_mov_b32_e32 v4, 0
	s_mov_b32 s45, s15
	s_mov_b64 s[6:7], s[26:27]
	v_mov_b32_e32 v6, 0
	v_mov_b32_e32 v0, v4
	;; [unrolled: 1-line block ×3, first 2 shown]
.LBB11_6:                               ;   Parent Loop BB11_3 Depth=1
                                        ; =>  This Inner Loop Header: Depth=2
	s_load_dwordx4 s[48:51], s[6:7], 0x1c
	s_load_dwordx2 s[46:47], s[6:7], 0x2c
	s_load_dwordx2 s[56:57], s[6:7], 0xec
	s_load_dwordx4 s[52:55], s[6:7], 0xdc
	s_add_u32 s6, s6, 24
	s_waitcnt lgkmcnt(0)
	v_mul_hi_u32 v7, s49, v5
	s_addc_u32 s7, s7, 0
	s_add_i32 s45, s45, -2
	s_cmp_lg_u32 s45, 0
	v_add_u32_e32 v7, v5, v7
	v_lshrrev_b32_e32 v7, s50, v7
	v_mul_lo_u32 v8, v7, s48
	v_mul_hi_u32 v9, s46, v7
	v_sub_u32_e32 v8, v5, v8
	v_add_u32_e32 v5, v7, v9
	v_lshrrev_b32_e32 v5, s47, v5
	v_mul_lo_u32 v11, v5, s51
	v_mul_lo_u32 v9, v8, s52
	v_mul_lo_u32 v10, v8, s53
	v_mul_lo_u32 v8, v8, s54
	v_sub_u32_e32 v7, v7, v11
	v_mul_lo_u32 v11, v7, s55
	v_mul_lo_u32 v12, v7, s56
	;; [unrolled: 1-line block ×3, first 2 shown]
	v_add3_u32 v0, v9, v0, v11
	v_add3_u32 v6, v10, v6, v12
	;; [unrolled: 1-line block ×3, first 2 shown]
	s_cbranch_scc1 .LBB11_6
; %bb.7:                                ;   in Loop: Header=BB11_3 Depth=1
	s_and_b64 vcc, exec, s[4:5]
	s_cbranch_vccnz .LBB11_9
; %bb.8:                                ;   in Loop: Header=BB11_3 Depth=1
	s_load_dwordx2 s[46:47], s[6:7], 0x1c
	s_load_dword s45, s[6:7], 0x24
	s_load_dwordx2 s[48:49], s[6:7], 0xdc
	s_waitcnt lgkmcnt(0)
	v_mul_hi_u32 v7, s47, v5
	v_add_u32_e32 v7, v5, v7
	v_lshrrev_b32_e32 v7, s45, v7
	v_mul_lo_u32 v7, v7, s46
	s_load_dword s45, s[6:7], 0xe4
	v_sub_u32_e32 v5, v5, v7
	v_mad_u64_u32 v[8:9], s[6:7], v5, s48, v[0:1]
	v_mad_u64_u32 v[6:7], s[6:7], v5, s49, v[6:7]
	s_waitcnt lgkmcnt(0)
	v_mad_u64_u32 v[4:5], s[6:7], v5, s45, v[4:5]
	v_mov_b32_e32 v0, v8
.LBB11_9:                               ;   in Loop: Header=BB11_3 Depth=1
	s_mov_b64 s[6:7], 0
.LBB11_10:                              ;   in Loop: Header=BB11_3 Depth=1
	s_andn2_b64 vcc, exec, s[6:7]
	s_cbranch_vccnz .LBB11_2
; %bb.11:                               ;   in Loop: Header=BB11_3 Depth=1
	v_mul_lo_u32 v0, v3, s10
	v_mul_hi_u32 v4, v2, s10
	s_andn2_b64 vcc, exec, s[34:35]
	v_add3_u32 v0, v4, v0, v2
	v_lshrrev_b32_e32 v5, s11, v0
	v_mul_lo_u32 v0, v5, s9
	v_sub_u32_e32 v4, v2, v0
	s_waitcnt lgkmcnt(0)
	v_mul_lo_u32 v0, v4, s20
	v_mul_lo_u32 v6, v4, s21
	;; [unrolled: 1-line block ×3, first 2 shown]
	s_cbranch_vccnz .LBB11_2
; %bb.12:                               ;   in Loop: Header=BB11_3 Depth=1
	v_mul_hi_u32 v7, s8, v5
	v_add_u32_e32 v7, v5, v7
	v_lshrrev_b32_e32 v7, s14, v7
	v_mul_lo_u32 v7, v7, s12
	v_sub_u32_e32 v5, v5, v7
	v_mad_u64_u32 v[8:9], s[6:7], v5, s23, v[0:1]
	v_mad_u64_u32 v[6:7], s[6:7], v5, s30, v[6:7]
	;; [unrolled: 1-line block ×3, first 2 shown]
	v_mov_b32_e32 v0, v8
	s_branch .LBB11_2
.LBB11_13:
	s_endpgm
	.section	.rodata,"a",@progbits
	.p2align	6, 0x0
	.amdhsa_kernel _ZN2at6native12cross_kernelId16OffsetCalculatorILi3EjLb0EEiEEviPT_PKS4_S7_T0_T1_S9_S9_
		.amdhsa_group_segment_fixed_size 0
		.amdhsa_private_segment_fixed_size 0
		.amdhsa_kernarg_size 688
		.amdhsa_user_sgpr_count 6
		.amdhsa_user_sgpr_private_segment_buffer 1
		.amdhsa_user_sgpr_dispatch_ptr 0
		.amdhsa_user_sgpr_queue_ptr 0
		.amdhsa_user_sgpr_kernarg_segment_ptr 1
		.amdhsa_user_sgpr_dispatch_id 0
		.amdhsa_user_sgpr_flat_scratch_init 0
		.amdhsa_user_sgpr_private_segment_size 0
		.amdhsa_uses_dynamic_stack 0
		.amdhsa_system_sgpr_private_segment_wavefront_offset 0
		.amdhsa_system_sgpr_workgroup_id_x 1
		.amdhsa_system_sgpr_workgroup_id_y 0
		.amdhsa_system_sgpr_workgroup_id_z 0
		.amdhsa_system_sgpr_workgroup_info 0
		.amdhsa_system_vgpr_workitem_id 0
		.amdhsa_next_free_vgpr 23
		.amdhsa_next_free_sgpr 58
		.amdhsa_reserve_vcc 1
		.amdhsa_reserve_flat_scratch 0
		.amdhsa_float_round_mode_32 0
		.amdhsa_float_round_mode_16_64 0
		.amdhsa_float_denorm_mode_32 3
		.amdhsa_float_denorm_mode_16_64 3
		.amdhsa_dx10_clamp 1
		.amdhsa_ieee_mode 1
		.amdhsa_fp16_overflow 0
		.amdhsa_exception_fp_ieee_invalid_op 0
		.amdhsa_exception_fp_denorm_src 0
		.amdhsa_exception_fp_ieee_div_zero 0
		.amdhsa_exception_fp_ieee_overflow 0
		.amdhsa_exception_fp_ieee_underflow 0
		.amdhsa_exception_fp_ieee_inexact 0
		.amdhsa_exception_int_div_zero 0
	.end_amdhsa_kernel
	.section	.text._ZN2at6native12cross_kernelId16OffsetCalculatorILi3EjLb0EEiEEviPT_PKS4_S7_T0_T1_S9_S9_,"axG",@progbits,_ZN2at6native12cross_kernelId16OffsetCalculatorILi3EjLb0EEiEEviPT_PKS4_S7_T0_T1_S9_S9_,comdat
.Lfunc_end11:
	.size	_ZN2at6native12cross_kernelId16OffsetCalculatorILi3EjLb0EEiEEviPT_PKS4_S7_T0_T1_S9_S9_, .Lfunc_end11-_ZN2at6native12cross_kernelId16OffsetCalculatorILi3EjLb0EEiEEviPT_PKS4_S7_T0_T1_S9_S9_
                                        ; -- End function
	.set _ZN2at6native12cross_kernelId16OffsetCalculatorILi3EjLb0EEiEEviPT_PKS4_S7_T0_T1_S9_S9_.num_vgpr, 23
	.set _ZN2at6native12cross_kernelId16OffsetCalculatorILi3EjLb0EEiEEviPT_PKS4_S7_T0_T1_S9_S9_.num_agpr, 0
	.set _ZN2at6native12cross_kernelId16OffsetCalculatorILi3EjLb0EEiEEviPT_PKS4_S7_T0_T1_S9_S9_.numbered_sgpr, 58
	.set _ZN2at6native12cross_kernelId16OffsetCalculatorILi3EjLb0EEiEEviPT_PKS4_S7_T0_T1_S9_S9_.num_named_barrier, 0
	.set _ZN2at6native12cross_kernelId16OffsetCalculatorILi3EjLb0EEiEEviPT_PKS4_S7_T0_T1_S9_S9_.private_seg_size, 0
	.set _ZN2at6native12cross_kernelId16OffsetCalculatorILi3EjLb0EEiEEviPT_PKS4_S7_T0_T1_S9_S9_.uses_vcc, 1
	.set _ZN2at6native12cross_kernelId16OffsetCalculatorILi3EjLb0EEiEEviPT_PKS4_S7_T0_T1_S9_S9_.uses_flat_scratch, 0
	.set _ZN2at6native12cross_kernelId16OffsetCalculatorILi3EjLb0EEiEEviPT_PKS4_S7_T0_T1_S9_S9_.has_dyn_sized_stack, 0
	.set _ZN2at6native12cross_kernelId16OffsetCalculatorILi3EjLb0EEiEEviPT_PKS4_S7_T0_T1_S9_S9_.has_recursion, 0
	.set _ZN2at6native12cross_kernelId16OffsetCalculatorILi3EjLb0EEiEEviPT_PKS4_S7_T0_T1_S9_S9_.has_indirect_call, 0
	.section	.AMDGPU.csdata,"",@progbits
; Kernel info:
; codeLenInByte = 1100
; TotalNumSgprs: 62
; NumVgprs: 23
; ScratchSize: 0
; MemoryBound: 0
; FloatMode: 240
; IeeeMode: 1
; LDSByteSize: 0 bytes/workgroup (compile time only)
; SGPRBlocks: 7
; VGPRBlocks: 5
; NumSGPRsForWavesPerEU: 62
; NumVGPRsForWavesPerEU: 23
; Occupancy: 10
; WaveLimiterHint : 1
; COMPUTE_PGM_RSRC2:SCRATCH_EN: 0
; COMPUTE_PGM_RSRC2:USER_SGPR: 6
; COMPUTE_PGM_RSRC2:TRAP_HANDLER: 0
; COMPUTE_PGM_RSRC2:TGID_X_EN: 1
; COMPUTE_PGM_RSRC2:TGID_Y_EN: 0
; COMPUTE_PGM_RSRC2:TGID_Z_EN: 0
; COMPUTE_PGM_RSRC2:TIDIG_COMP_CNT: 0
	.section	.text._ZN2at6native12cross_kernelIf16OffsetCalculatorILi3EjLb0EElEEviPT_PKS4_S7_T0_T1_S9_S9_,"axG",@progbits,_ZN2at6native12cross_kernelIf16OffsetCalculatorILi3EjLb0EElEEviPT_PKS4_S7_T0_T1_S9_S9_,comdat
	.protected	_ZN2at6native12cross_kernelIf16OffsetCalculatorILi3EjLb0EElEEviPT_PKS4_S7_T0_T1_S9_S9_ ; -- Begin function _ZN2at6native12cross_kernelIf16OffsetCalculatorILi3EjLb0EElEEviPT_PKS4_S7_T0_T1_S9_S9_
	.globl	_ZN2at6native12cross_kernelIf16OffsetCalculatorILi3EjLb0EElEEviPT_PKS4_S7_T0_T1_S9_S9_
	.p2align	8
	.type	_ZN2at6native12cross_kernelIf16OffsetCalculatorILi3EjLb0EElEEviPT_PKS4_S7_T0_T1_S9_S9_,@function
_ZN2at6native12cross_kernelIf16OffsetCalculatorILi3EjLb0EElEEviPT_PKS4_S7_T0_T1_S9_S9_: ; @_ZN2at6native12cross_kernelIf16OffsetCalculatorILi3EjLb0EElEEviPT_PKS4_S7_T0_T1_S9_S9_
; %bb.0:
	s_load_dword s24, s[4:5], 0x0
	s_load_dword s2, s[4:5], 0x1cc
	v_mov_b32_e32 v1, 0
	v_mov_b32_e32 v2, s6
	s_waitcnt lgkmcnt(0)
	s_ashr_i32 s25, s24, 31
	s_add_u32 s0, s4, 0x1c0
	s_addc_u32 s1, s5, 0
	s_and_b32 s2, s2, 0xffff
	v_mad_u64_u32 v[2:3], s[6:7], s2, v2, v[0:1]
	v_cmp_gt_i64_e32 vcc, s[24:25], v[2:3]
	s_and_saveexec_b64 s[6:7], vcc
	s_cbranch_execz .LBB12_13
; %bb.1:
	s_load_dwordx4 s[16:19], s[4:5], 0x8
	s_load_dwordx2 s[28:29], s[4:5], 0x18
	s_load_dwordx8 s[8:15], s[4:5], 0x20
	s_load_dwordx2 s[6:7], s[4:5], 0x1b8
	s_load_dwordx4 s[48:51], s[4:5], 0x1a8
	s_load_dword s3, s[0:1], 0x0
	s_add_u32 s26, s4, 8
	s_waitcnt lgkmcnt(0)
	v_sub_co_u32_e64 v0, s[0:1], s8, 1
	v_readfirstlane_b32 s15, v0
	s_addc_u32 s27, s5, 0
	s_xor_b64 s[0:1], s[0:1], -1
	s_min_u32 s33, s15, 15
	s_cmp_gt_u32 s8, 1
	s_cselect_b64 s[34:35], -1, 0
	s_mov_b32 s8, s13
	s_mul_i32 s13, s3, s2
	s_add_i32 s2, s33, 1
	s_load_dwordx4 s[20:23], s[4:5], 0xe4
	s_load_dwordx2 s[30:31], s[4:5], 0xf4
	s_lshl_b64 s[36:37], s[6:7], 3
	s_and_b32 s15, s2, 30
	s_bitcmp0_b32 s33, 0
	s_cselect_b64 s[2:3], -1, 0
	s_lshl_b64 s[38:39], s[50:51], 2
	s_lshl_b64 s[4:5], s[6:7], 2
	v_cmp_lt_u32_e32 vcc, 1, v0
	s_sub_u32 s33, 0, s4
	v_cndmask_b32_e64 v0, 0, 1, vcc
	v_cndmask_b32_e64 v4, 0, 1, s[0:1]
	v_cndmask_b32_e64 v5, 0, 1, s[2:3]
	s_mov_b64 s[40:41], 0
	s_subb_u32 s44, 0, s5
	s_lshl_b64 s[42:43], s[48:49], 2
	v_cmp_ne_u32_e64 s[0:1], 1, v0
	v_cmp_ne_u32_e64 s[2:3], 1, v4
	;; [unrolled: 1-line block ×3, first 2 shown]
	s_branch .LBB12_3
.LBB12_2:                               ;   in Loop: Header=BB12_3 Depth=1
	v_mov_b32_e32 v7, v1
	v_lshlrev_b64 v[5:6], 2, v[6:7]
	v_mov_b32_e32 v8, s19
	v_add_co_u32_e32 v7, vcc, s18, v5
	v_mov_b32_e32 v5, v1
	v_lshlrev_b64 v[4:5], 2, v[4:5]
	v_addc_co_u32_e32 v8, vcc, v8, v6, vcc
	v_mov_b32_e32 v6, s29
	v_add_co_u32_e32 v4, vcc, s28, v4
	v_addc_co_u32_e32 v5, vcc, v6, v5, vcc
	v_mov_b32_e32 v6, s39
	v_add_co_u32_e32 v9, vcc, s38, v7
	v_addc_co_u32_e32 v10, vcc, v8, v6, vcc
	v_mov_b32_e32 v12, s37
	v_add_co_u32_e32 v11, vcc, s36, v4
	v_addc_co_u32_e32 v12, vcc, v5, v12, vcc
	global_load_dword v13, v[9:10], off
	v_add_co_u32_e32 v9, vcc, s38, v9
	v_addc_co_u32_e32 v10, vcc, v10, v6, vcc
	global_load_dword v15, v[9:10], off
	v_mov_b32_e32 v6, s44
	v_add_co_u32_e32 v9, vcc, s33, v11
	global_load_dword v14, v[11:12], off
	v_addc_co_u32_e32 v10, vcc, v12, v6, vcc
	global_load_dword v11, v[7:8], off
	global_load_dword v12, v[4:5], off
	;; [unrolled: 1-line block ×3, first 2 shown]
	v_lshlrev_b64 v[4:5], 2, v[0:1]
	v_add_co_u32_e32 v2, vcc, s13, v2
	v_mov_b32_e32 v0, s17
	v_addc_co_u32_e32 v3, vcc, 0, v3, vcc
	v_add_co_u32_e64 v4, s[6:7], s16, v4
	v_cmp_le_i64_e32 vcc, s[24:25], v[2:3]
	v_addc_co_u32_e64 v5, s[6:7], v0, v5, s[6:7]
	v_mov_b32_e32 v9, s43
	v_add_co_u32_e64 v6, s[6:7], s42, v4
	v_addc_co_u32_e64 v7, s[6:7], v5, v9, s[6:7]
	s_or_b64 s[40:41], vcc, s[40:41]
	v_add_co_u32_e32 v8, vcc, s42, v6
	v_addc_co_u32_e32 v9, vcc, v7, v9, vcc
	s_waitcnt vmcnt(2)
	v_mul_f32_e32 v0, v14, v11
	s_waitcnt vmcnt(1)
	v_mul_f32_e32 v10, v13, v12
	;; [unrolled: 2-line block ×3, first 2 shown]
	v_fma_f32 v10, v16, v11, -v10
	v_fma_f32 v11, v13, v14, -v17
	;; [unrolled: 1-line block ×3, first 2 shown]
	global_store_dword v[4:5], v11, off
	global_store_dword v[6:7], v0, off
	;; [unrolled: 1-line block ×3, first 2 shown]
	s_andn2_b64 exec, exec, s[40:41]
	s_cbranch_execz .LBB12_13
.LBB12_3:                               ; =>This Loop Header: Depth=1
                                        ;     Child Loop BB12_6 Depth 2
	s_and_b64 vcc, exec, s[0:1]
	s_mov_b64 s[6:7], -1
                                        ; implicit-def: $vgpr6
                                        ; implicit-def: $vgpr4
	s_cbranch_vccnz .LBB12_10
; %bb.4:                                ;   in Loop: Header=BB12_3 Depth=1
	v_mov_b32_e32 v0, 0
	s_and_b64 vcc, exec, s[2:3]
	v_mov_b32_e32 v6, 0
	v_mov_b32_e32 v4, 0
	s_cbranch_vccnz .LBB12_9
; %bb.5:                                ;   in Loop: Header=BB12_3 Depth=1
	v_mov_b32_e32 v4, 0
	s_mov_b32 s45, s15
	s_mov_b64 s[6:7], s[26:27]
	v_mov_b32_e32 v6, 0
	v_mov_b32_e32 v0, v4
	;; [unrolled: 1-line block ×3, first 2 shown]
.LBB12_6:                               ;   Parent Loop BB12_3 Depth=1
                                        ; =>  This Inner Loop Header: Depth=2
	s_load_dwordx4 s[48:51], s[6:7], 0x1c
	s_load_dwordx2 s[46:47], s[6:7], 0x2c
	s_load_dwordx2 s[56:57], s[6:7], 0xec
	s_load_dwordx4 s[52:55], s[6:7], 0xdc
	s_add_u32 s6, s6, 24
	s_waitcnt lgkmcnt(0)
	v_mul_hi_u32 v7, s49, v5
	s_addc_u32 s7, s7, 0
	s_add_i32 s45, s45, -2
	s_cmp_lg_u32 s45, 0
	v_add_u32_e32 v7, v5, v7
	v_lshrrev_b32_e32 v7, s50, v7
	v_mul_lo_u32 v8, v7, s48
	v_mul_hi_u32 v9, s46, v7
	v_sub_u32_e32 v8, v5, v8
	v_add_u32_e32 v5, v7, v9
	v_lshrrev_b32_e32 v5, s47, v5
	v_mul_lo_u32 v11, v5, s51
	v_mul_lo_u32 v9, v8, s52
	;; [unrolled: 1-line block ×4, first 2 shown]
	v_sub_u32_e32 v7, v7, v11
	v_mul_lo_u32 v11, v7, s55
	v_mul_lo_u32 v12, v7, s56
	v_mul_lo_u32 v7, v7, s57
	v_add3_u32 v0, v9, v0, v11
	v_add3_u32 v6, v10, v6, v12
	;; [unrolled: 1-line block ×3, first 2 shown]
	s_cbranch_scc1 .LBB12_6
; %bb.7:                                ;   in Loop: Header=BB12_3 Depth=1
	s_and_b64 vcc, exec, s[4:5]
	s_cbranch_vccnz .LBB12_9
; %bb.8:                                ;   in Loop: Header=BB12_3 Depth=1
	s_load_dwordx2 s[46:47], s[6:7], 0x1c
	s_load_dword s45, s[6:7], 0x24
	s_load_dwordx2 s[48:49], s[6:7], 0xdc
	s_waitcnt lgkmcnt(0)
	v_mul_hi_u32 v7, s47, v5
	v_add_u32_e32 v7, v5, v7
	v_lshrrev_b32_e32 v7, s45, v7
	v_mul_lo_u32 v7, v7, s46
	s_load_dword s45, s[6:7], 0xe4
	v_sub_u32_e32 v5, v5, v7
	v_mad_u64_u32 v[8:9], s[6:7], v5, s48, v[0:1]
	v_mad_u64_u32 v[6:7], s[6:7], v5, s49, v[6:7]
	s_waitcnt lgkmcnt(0)
	v_mad_u64_u32 v[4:5], s[6:7], v5, s45, v[4:5]
	v_mov_b32_e32 v0, v8
.LBB12_9:                               ;   in Loop: Header=BB12_3 Depth=1
	s_mov_b64 s[6:7], 0
.LBB12_10:                              ;   in Loop: Header=BB12_3 Depth=1
	s_andn2_b64 vcc, exec, s[6:7]
	s_cbranch_vccnz .LBB12_2
; %bb.11:                               ;   in Loop: Header=BB12_3 Depth=1
	v_mul_lo_u32 v0, v3, s10
	v_mul_hi_u32 v4, v2, s10
	s_andn2_b64 vcc, exec, s[34:35]
	v_add3_u32 v0, v4, v0, v2
	v_lshrrev_b32_e32 v5, s11, v0
	v_mul_lo_u32 v0, v5, s9
	v_sub_u32_e32 v4, v2, v0
	s_waitcnt lgkmcnt(0)
	v_mul_lo_u32 v0, v4, s20
	v_mul_lo_u32 v6, v4, s21
	;; [unrolled: 1-line block ×3, first 2 shown]
	s_cbranch_vccnz .LBB12_2
; %bb.12:                               ;   in Loop: Header=BB12_3 Depth=1
	v_mul_hi_u32 v7, s8, v5
	v_add_u32_e32 v7, v5, v7
	v_lshrrev_b32_e32 v7, s14, v7
	v_mul_lo_u32 v7, v7, s12
	v_sub_u32_e32 v5, v5, v7
	v_mad_u64_u32 v[8:9], s[6:7], v5, s23, v[0:1]
	v_mad_u64_u32 v[6:7], s[6:7], v5, s30, v[6:7]
	;; [unrolled: 1-line block ×3, first 2 shown]
	v_mov_b32_e32 v0, v8
	s_branch .LBB12_2
.LBB12_13:
	s_endpgm
	.section	.rodata,"a",@progbits
	.p2align	6, 0x0
	.amdhsa_kernel _ZN2at6native12cross_kernelIf16OffsetCalculatorILi3EjLb0EElEEviPT_PKS4_S7_T0_T1_S9_S9_
		.amdhsa_group_segment_fixed_size 0
		.amdhsa_private_segment_fixed_size 0
		.amdhsa_kernarg_size 704
		.amdhsa_user_sgpr_count 6
		.amdhsa_user_sgpr_private_segment_buffer 1
		.amdhsa_user_sgpr_dispatch_ptr 0
		.amdhsa_user_sgpr_queue_ptr 0
		.amdhsa_user_sgpr_kernarg_segment_ptr 1
		.amdhsa_user_sgpr_dispatch_id 0
		.amdhsa_user_sgpr_flat_scratch_init 0
		.amdhsa_user_sgpr_private_segment_size 0
		.amdhsa_uses_dynamic_stack 0
		.amdhsa_system_sgpr_private_segment_wavefront_offset 0
		.amdhsa_system_sgpr_workgroup_id_x 1
		.amdhsa_system_sgpr_workgroup_id_y 0
		.amdhsa_system_sgpr_workgroup_id_z 0
		.amdhsa_system_sgpr_workgroup_info 0
		.amdhsa_system_vgpr_workitem_id 0
		.amdhsa_next_free_vgpr 18
		.amdhsa_next_free_sgpr 58
		.amdhsa_reserve_vcc 1
		.amdhsa_reserve_flat_scratch 0
		.amdhsa_float_round_mode_32 0
		.amdhsa_float_round_mode_16_64 0
		.amdhsa_float_denorm_mode_32 3
		.amdhsa_float_denorm_mode_16_64 3
		.amdhsa_dx10_clamp 1
		.amdhsa_ieee_mode 1
		.amdhsa_fp16_overflow 0
		.amdhsa_exception_fp_ieee_invalid_op 0
		.amdhsa_exception_fp_denorm_src 0
		.amdhsa_exception_fp_ieee_div_zero 0
		.amdhsa_exception_fp_ieee_overflow 0
		.amdhsa_exception_fp_ieee_underflow 0
		.amdhsa_exception_fp_ieee_inexact 0
		.amdhsa_exception_int_div_zero 0
	.end_amdhsa_kernel
	.section	.text._ZN2at6native12cross_kernelIf16OffsetCalculatorILi3EjLb0EElEEviPT_PKS4_S7_T0_T1_S9_S9_,"axG",@progbits,_ZN2at6native12cross_kernelIf16OffsetCalculatorILi3EjLb0EElEEviPT_PKS4_S7_T0_T1_S9_S9_,comdat
.Lfunc_end12:
	.size	_ZN2at6native12cross_kernelIf16OffsetCalculatorILi3EjLb0EElEEviPT_PKS4_S7_T0_T1_S9_S9_, .Lfunc_end12-_ZN2at6native12cross_kernelIf16OffsetCalculatorILi3EjLb0EElEEviPT_PKS4_S7_T0_T1_S9_S9_
                                        ; -- End function
	.set _ZN2at6native12cross_kernelIf16OffsetCalculatorILi3EjLb0EElEEviPT_PKS4_S7_T0_T1_S9_S9_.num_vgpr, 18
	.set _ZN2at6native12cross_kernelIf16OffsetCalculatorILi3EjLb0EElEEviPT_PKS4_S7_T0_T1_S9_S9_.num_agpr, 0
	.set _ZN2at6native12cross_kernelIf16OffsetCalculatorILi3EjLb0EElEEviPT_PKS4_S7_T0_T1_S9_S9_.numbered_sgpr, 58
	.set _ZN2at6native12cross_kernelIf16OffsetCalculatorILi3EjLb0EElEEviPT_PKS4_S7_T0_T1_S9_S9_.num_named_barrier, 0
	.set _ZN2at6native12cross_kernelIf16OffsetCalculatorILi3EjLb0EElEEviPT_PKS4_S7_T0_T1_S9_S9_.private_seg_size, 0
	.set _ZN2at6native12cross_kernelIf16OffsetCalculatorILi3EjLb0EElEEviPT_PKS4_S7_T0_T1_S9_S9_.uses_vcc, 1
	.set _ZN2at6native12cross_kernelIf16OffsetCalculatorILi3EjLb0EElEEviPT_PKS4_S7_T0_T1_S9_S9_.uses_flat_scratch, 0
	.set _ZN2at6native12cross_kernelIf16OffsetCalculatorILi3EjLb0EElEEviPT_PKS4_S7_T0_T1_S9_S9_.has_dyn_sized_stack, 0
	.set _ZN2at6native12cross_kernelIf16OffsetCalculatorILi3EjLb0EElEEviPT_PKS4_S7_T0_T1_S9_S9_.has_recursion, 0
	.set _ZN2at6native12cross_kernelIf16OffsetCalculatorILi3EjLb0EElEEviPT_PKS4_S7_T0_T1_S9_S9_.has_indirect_call, 0
	.section	.AMDGPU.csdata,"",@progbits
; Kernel info:
; codeLenInByte = 1072
; TotalNumSgprs: 62
; NumVgprs: 18
; ScratchSize: 0
; MemoryBound: 0
; FloatMode: 240
; IeeeMode: 1
; LDSByteSize: 0 bytes/workgroup (compile time only)
; SGPRBlocks: 7
; VGPRBlocks: 4
; NumSGPRsForWavesPerEU: 62
; NumVGPRsForWavesPerEU: 18
; Occupancy: 10
; WaveLimiterHint : 1
; COMPUTE_PGM_RSRC2:SCRATCH_EN: 0
; COMPUTE_PGM_RSRC2:USER_SGPR: 6
; COMPUTE_PGM_RSRC2:TRAP_HANDLER: 0
; COMPUTE_PGM_RSRC2:TGID_X_EN: 1
; COMPUTE_PGM_RSRC2:TGID_Y_EN: 0
; COMPUTE_PGM_RSRC2:TGID_Z_EN: 0
; COMPUTE_PGM_RSRC2:TIDIG_COMP_CNT: 0
	.section	.text._ZN2at6native12cross_kernelIf16OffsetCalculatorILi3EjLb0EEiEEviPT_PKS4_S7_T0_T1_S9_S9_,"axG",@progbits,_ZN2at6native12cross_kernelIf16OffsetCalculatorILi3EjLb0EEiEEviPT_PKS4_S7_T0_T1_S9_S9_,comdat
	.protected	_ZN2at6native12cross_kernelIf16OffsetCalculatorILi3EjLb0EEiEEviPT_PKS4_S7_T0_T1_S9_S9_ ; -- Begin function _ZN2at6native12cross_kernelIf16OffsetCalculatorILi3EjLb0EEiEEviPT_PKS4_S7_T0_T1_S9_S9_
	.globl	_ZN2at6native12cross_kernelIf16OffsetCalculatorILi3EjLb0EEiEEviPT_PKS4_S7_T0_T1_S9_S9_
	.p2align	8
	.type	_ZN2at6native12cross_kernelIf16OffsetCalculatorILi3EjLb0EEiEEviPT_PKS4_S7_T0_T1_S9_S9_,@function
_ZN2at6native12cross_kernelIf16OffsetCalculatorILi3EjLb0EEiEEviPT_PKS4_S7_T0_T1_S9_S9_: ; @_ZN2at6native12cross_kernelIf16OffsetCalculatorILi3EjLb0EEiEEviPT_PKS4_S7_T0_T1_S9_S9_
; %bb.0:
	s_load_dword s24, s[4:5], 0x0
	s_load_dword s2, s[4:5], 0x1bc
	v_mov_b32_e32 v1, 0
	v_mov_b32_e32 v2, s6
	s_waitcnt lgkmcnt(0)
	s_ashr_i32 s25, s24, 31
	s_add_u32 s0, s4, 0x1b0
	s_addc_u32 s1, s5, 0
	s_and_b32 s2, s2, 0xffff
	v_mad_u64_u32 v[2:3], s[6:7], s2, v2, v[0:1]
	v_cmp_gt_i64_e32 vcc, s[24:25], v[2:3]
	s_and_saveexec_b64 s[6:7], vcc
	s_cbranch_execz .LBB13_13
; %bb.1:
	s_load_dwordx8 s[8:15], s[4:5], 0x20
	s_load_dwordx4 s[16:19], s[4:5], 0x8
	s_load_dwordx2 s[28:29], s[4:5], 0x18
	s_load_dwordx4 s[40:43], s[4:5], 0x1a4
	s_load_dword s3, s[0:1], 0x0
	s_waitcnt lgkmcnt(0)
	v_sub_co_u32_e64 v0, s[0:1], s8, 1
	s_add_u32 s26, s4, 8
	v_readfirstlane_b32 s6, v0
	s_addc_u32 s27, s5, 0
	s_xor_b64 s[0:1], s[0:1], -1
	s_min_u32 s33, s6, 15
	s_cmp_gt_u32 s8, 1
	s_cselect_b64 s[34:35], -1, 0
	s_mov_b32 s8, s13
	s_lshl_b32 s6, s42, 1
	s_mul_i32 s13, s3, s2
	s_add_i32 s2, s33, 1
	s_load_dwordx4 s[20:23], s[4:5], 0xe4
	s_load_dwordx2 s[30:31], s[4:5], 0xf4
	s_ashr_i32 s5, s41, 31
	s_mov_b32 s4, s41
	s_ashr_i32 s7, s6, 31
	s_ashr_i32 s41, s40, 31
	s_and_b32 s15, s2, 30
	s_bitcmp0_b32 s33, 0
	s_cselect_b64 s[2:3], -1, 0
	s_ashr_i32 s43, s42, 31
	s_lshl_b64 s[36:37], s[4:5], 2
	s_lshl_b64 s[4:5], s[42:43], 2
	v_cmp_lt_u32_e32 vcc, 1, v0
	s_sub_u32 s33, 0, s4
	v_cndmask_b32_e64 v0, 0, 1, vcc
	v_cndmask_b32_e64 v4, 0, 1, s[0:1]
	v_cndmask_b32_e64 v5, 0, 1, s[2:3]
	s_mov_b64 s[38:39], 0
	s_subb_u32 s44, 0, s5
	s_lshl_b64 s[40:41], s[40:41], 2
	s_lshl_b64 s[42:43], s[6:7], 2
	v_cmp_ne_u32_e64 s[0:1], 1, v0
	v_cmp_ne_u32_e64 s[2:3], 1, v4
	;; [unrolled: 1-line block ×3, first 2 shown]
	s_branch .LBB13_3
.LBB13_2:                               ;   in Loop: Header=BB13_3 Depth=1
	v_mov_b32_e32 v7, v1
	v_lshlrev_b64 v[5:6], 2, v[6:7]
	v_mov_b32_e32 v8, s19
	v_add_co_u32_e32 v7, vcc, s18, v5
	v_mov_b32_e32 v5, v1
	v_lshlrev_b64 v[4:5], 2, v[4:5]
	v_addc_co_u32_e32 v8, vcc, v8, v6, vcc
	v_mov_b32_e32 v6, s29
	v_add_co_u32_e32 v4, vcc, s28, v4
	v_addc_co_u32_e32 v5, vcc, v6, v5, vcc
	v_mov_b32_e32 v6, s37
	v_add_co_u32_e32 v9, vcc, s36, v7
	;; [unrolled: 3-line block ×3, first 2 shown]
	v_addc_co_u32_e32 v12, vcc, v5, v12, vcc
	global_load_dword v13, v[9:10], off
	v_add_co_u32_e32 v9, vcc, s36, v9
	v_addc_co_u32_e32 v10, vcc, v10, v6, vcc
	global_load_dword v15, v[9:10], off
	v_mov_b32_e32 v6, s44
	v_add_co_u32_e32 v9, vcc, s33, v11
	global_load_dword v14, v[11:12], off
	v_addc_co_u32_e32 v10, vcc, v12, v6, vcc
	global_load_dword v11, v[7:8], off
	global_load_dword v12, v[4:5], off
	;; [unrolled: 1-line block ×3, first 2 shown]
	v_lshlrev_b64 v[4:5], 2, v[0:1]
	v_add_co_u32_e32 v2, vcc, s13, v2
	v_mov_b32_e32 v0, s17
	v_addc_co_u32_e32 v3, vcc, 0, v3, vcc
	v_add_co_u32_e64 v4, s[6:7], s16, v4
	v_cmp_le_i64_e32 vcc, s[24:25], v[2:3]
	v_addc_co_u32_e64 v5, s[6:7], v0, v5, s[6:7]
	v_mov_b32_e32 v9, s41
	v_add_co_u32_e64 v6, s[6:7], s40, v4
	v_addc_co_u32_e64 v7, s[6:7], v5, v9, s[6:7]
	s_or_b64 s[38:39], vcc, s[38:39]
	v_add_co_u32_e32 v8, vcc, s40, v6
	v_addc_co_u32_e32 v9, vcc, v7, v9, vcc
	s_waitcnt vmcnt(2)
	v_mul_f32_e32 v0, v14, v11
	s_waitcnt vmcnt(1)
	v_mul_f32_e32 v10, v13, v12
	;; [unrolled: 2-line block ×3, first 2 shown]
	v_fma_f32 v10, v16, v11, -v10
	v_fma_f32 v11, v13, v14, -v17
	;; [unrolled: 1-line block ×3, first 2 shown]
	global_store_dword v[4:5], v11, off
	global_store_dword v[6:7], v0, off
	;; [unrolled: 1-line block ×3, first 2 shown]
	s_andn2_b64 exec, exec, s[38:39]
	s_cbranch_execz .LBB13_13
.LBB13_3:                               ; =>This Loop Header: Depth=1
                                        ;     Child Loop BB13_6 Depth 2
	s_and_b64 vcc, exec, s[0:1]
	s_mov_b64 s[6:7], -1
                                        ; implicit-def: $vgpr6
                                        ; implicit-def: $vgpr4
	s_cbranch_vccnz .LBB13_10
; %bb.4:                                ;   in Loop: Header=BB13_3 Depth=1
	v_mov_b32_e32 v0, 0
	s_and_b64 vcc, exec, s[2:3]
	v_mov_b32_e32 v6, 0
	v_mov_b32_e32 v4, 0
	s_cbranch_vccnz .LBB13_9
; %bb.5:                                ;   in Loop: Header=BB13_3 Depth=1
	v_mov_b32_e32 v4, 0
	s_mov_b32 s45, s15
	s_mov_b64 s[6:7], s[26:27]
	v_mov_b32_e32 v6, 0
	v_mov_b32_e32 v0, v4
	;; [unrolled: 1-line block ×3, first 2 shown]
.LBB13_6:                               ;   Parent Loop BB13_3 Depth=1
                                        ; =>  This Inner Loop Header: Depth=2
	s_load_dwordx4 s[48:51], s[6:7], 0x1c
	s_load_dwordx2 s[46:47], s[6:7], 0x2c
	s_load_dwordx2 s[56:57], s[6:7], 0xec
	s_load_dwordx4 s[52:55], s[6:7], 0xdc
	s_add_u32 s6, s6, 24
	s_waitcnt lgkmcnt(0)
	v_mul_hi_u32 v7, s49, v5
	s_addc_u32 s7, s7, 0
	s_add_i32 s45, s45, -2
	s_cmp_lg_u32 s45, 0
	v_add_u32_e32 v7, v5, v7
	v_lshrrev_b32_e32 v7, s50, v7
	v_mul_lo_u32 v8, v7, s48
	v_mul_hi_u32 v9, s46, v7
	v_sub_u32_e32 v8, v5, v8
	v_add_u32_e32 v5, v7, v9
	v_lshrrev_b32_e32 v5, s47, v5
	v_mul_lo_u32 v11, v5, s51
	v_mul_lo_u32 v9, v8, s52
	;; [unrolled: 1-line block ×4, first 2 shown]
	v_sub_u32_e32 v7, v7, v11
	v_mul_lo_u32 v11, v7, s55
	v_mul_lo_u32 v12, v7, s56
	;; [unrolled: 1-line block ×3, first 2 shown]
	v_add3_u32 v0, v9, v0, v11
	v_add3_u32 v6, v10, v6, v12
	;; [unrolled: 1-line block ×3, first 2 shown]
	s_cbranch_scc1 .LBB13_6
; %bb.7:                                ;   in Loop: Header=BB13_3 Depth=1
	s_and_b64 vcc, exec, s[4:5]
	s_cbranch_vccnz .LBB13_9
; %bb.8:                                ;   in Loop: Header=BB13_3 Depth=1
	s_load_dwordx2 s[46:47], s[6:7], 0x1c
	s_load_dword s45, s[6:7], 0x24
	s_load_dwordx2 s[48:49], s[6:7], 0xdc
	s_waitcnt lgkmcnt(0)
	v_mul_hi_u32 v7, s47, v5
	v_add_u32_e32 v7, v5, v7
	v_lshrrev_b32_e32 v7, s45, v7
	v_mul_lo_u32 v7, v7, s46
	s_load_dword s45, s[6:7], 0xe4
	v_sub_u32_e32 v5, v5, v7
	v_mad_u64_u32 v[8:9], s[6:7], v5, s48, v[0:1]
	v_mad_u64_u32 v[6:7], s[6:7], v5, s49, v[6:7]
	s_waitcnt lgkmcnt(0)
	v_mad_u64_u32 v[4:5], s[6:7], v5, s45, v[4:5]
	v_mov_b32_e32 v0, v8
.LBB13_9:                               ;   in Loop: Header=BB13_3 Depth=1
	s_mov_b64 s[6:7], 0
.LBB13_10:                              ;   in Loop: Header=BB13_3 Depth=1
	s_andn2_b64 vcc, exec, s[6:7]
	s_cbranch_vccnz .LBB13_2
; %bb.11:                               ;   in Loop: Header=BB13_3 Depth=1
	v_mul_lo_u32 v0, v3, s10
	v_mul_hi_u32 v4, v2, s10
	s_andn2_b64 vcc, exec, s[34:35]
	v_add3_u32 v0, v4, v0, v2
	v_lshrrev_b32_e32 v5, s11, v0
	v_mul_lo_u32 v0, v5, s9
	v_sub_u32_e32 v4, v2, v0
	s_waitcnt lgkmcnt(0)
	v_mul_lo_u32 v0, v4, s20
	v_mul_lo_u32 v6, v4, s21
	;; [unrolled: 1-line block ×3, first 2 shown]
	s_cbranch_vccnz .LBB13_2
; %bb.12:                               ;   in Loop: Header=BB13_3 Depth=1
	v_mul_hi_u32 v7, s8, v5
	v_add_u32_e32 v7, v5, v7
	v_lshrrev_b32_e32 v7, s14, v7
	v_mul_lo_u32 v7, v7, s12
	v_sub_u32_e32 v5, v5, v7
	v_mad_u64_u32 v[8:9], s[6:7], v5, s23, v[0:1]
	v_mad_u64_u32 v[6:7], s[6:7], v5, s30, v[6:7]
	;; [unrolled: 1-line block ×3, first 2 shown]
	v_mov_b32_e32 v0, v8
	s_branch .LBB13_2
.LBB13_13:
	s_endpgm
	.section	.rodata,"a",@progbits
	.p2align	6, 0x0
	.amdhsa_kernel _ZN2at6native12cross_kernelIf16OffsetCalculatorILi3EjLb0EEiEEviPT_PKS4_S7_T0_T1_S9_S9_
		.amdhsa_group_segment_fixed_size 0
		.amdhsa_private_segment_fixed_size 0
		.amdhsa_kernarg_size 688
		.amdhsa_user_sgpr_count 6
		.amdhsa_user_sgpr_private_segment_buffer 1
		.amdhsa_user_sgpr_dispatch_ptr 0
		.amdhsa_user_sgpr_queue_ptr 0
		.amdhsa_user_sgpr_kernarg_segment_ptr 1
		.amdhsa_user_sgpr_dispatch_id 0
		.amdhsa_user_sgpr_flat_scratch_init 0
		.amdhsa_user_sgpr_private_segment_size 0
		.amdhsa_uses_dynamic_stack 0
		.amdhsa_system_sgpr_private_segment_wavefront_offset 0
		.amdhsa_system_sgpr_workgroup_id_x 1
		.amdhsa_system_sgpr_workgroup_id_y 0
		.amdhsa_system_sgpr_workgroup_id_z 0
		.amdhsa_system_sgpr_workgroup_info 0
		.amdhsa_system_vgpr_workitem_id 0
		.amdhsa_next_free_vgpr 18
		.amdhsa_next_free_sgpr 58
		.amdhsa_reserve_vcc 1
		.amdhsa_reserve_flat_scratch 0
		.amdhsa_float_round_mode_32 0
		.amdhsa_float_round_mode_16_64 0
		.amdhsa_float_denorm_mode_32 3
		.amdhsa_float_denorm_mode_16_64 3
		.amdhsa_dx10_clamp 1
		.amdhsa_ieee_mode 1
		.amdhsa_fp16_overflow 0
		.amdhsa_exception_fp_ieee_invalid_op 0
		.amdhsa_exception_fp_denorm_src 0
		.amdhsa_exception_fp_ieee_div_zero 0
		.amdhsa_exception_fp_ieee_overflow 0
		.amdhsa_exception_fp_ieee_underflow 0
		.amdhsa_exception_fp_ieee_inexact 0
		.amdhsa_exception_int_div_zero 0
	.end_amdhsa_kernel
	.section	.text._ZN2at6native12cross_kernelIf16OffsetCalculatorILi3EjLb0EEiEEviPT_PKS4_S7_T0_T1_S9_S9_,"axG",@progbits,_ZN2at6native12cross_kernelIf16OffsetCalculatorILi3EjLb0EEiEEviPT_PKS4_S7_T0_T1_S9_S9_,comdat
.Lfunc_end13:
	.size	_ZN2at6native12cross_kernelIf16OffsetCalculatorILi3EjLb0EEiEEviPT_PKS4_S7_T0_T1_S9_S9_, .Lfunc_end13-_ZN2at6native12cross_kernelIf16OffsetCalculatorILi3EjLb0EEiEEviPT_PKS4_S7_T0_T1_S9_S9_
                                        ; -- End function
	.set _ZN2at6native12cross_kernelIf16OffsetCalculatorILi3EjLb0EEiEEviPT_PKS4_S7_T0_T1_S9_S9_.num_vgpr, 18
	.set _ZN2at6native12cross_kernelIf16OffsetCalculatorILi3EjLb0EEiEEviPT_PKS4_S7_T0_T1_S9_S9_.num_agpr, 0
	.set _ZN2at6native12cross_kernelIf16OffsetCalculatorILi3EjLb0EEiEEviPT_PKS4_S7_T0_T1_S9_S9_.numbered_sgpr, 58
	.set _ZN2at6native12cross_kernelIf16OffsetCalculatorILi3EjLb0EEiEEviPT_PKS4_S7_T0_T1_S9_S9_.num_named_barrier, 0
	.set _ZN2at6native12cross_kernelIf16OffsetCalculatorILi3EjLb0EEiEEviPT_PKS4_S7_T0_T1_S9_S9_.private_seg_size, 0
	.set _ZN2at6native12cross_kernelIf16OffsetCalculatorILi3EjLb0EEiEEviPT_PKS4_S7_T0_T1_S9_S9_.uses_vcc, 1
	.set _ZN2at6native12cross_kernelIf16OffsetCalculatorILi3EjLb0EEiEEviPT_PKS4_S7_T0_T1_S9_S9_.uses_flat_scratch, 0
	.set _ZN2at6native12cross_kernelIf16OffsetCalculatorILi3EjLb0EEiEEviPT_PKS4_S7_T0_T1_S9_S9_.has_dyn_sized_stack, 0
	.set _ZN2at6native12cross_kernelIf16OffsetCalculatorILi3EjLb0EEiEEviPT_PKS4_S7_T0_T1_S9_S9_.has_recursion, 0
	.set _ZN2at6native12cross_kernelIf16OffsetCalculatorILi3EjLb0EEiEEviPT_PKS4_S7_T0_T1_S9_S9_.has_indirect_call, 0
	.section	.AMDGPU.csdata,"",@progbits
; Kernel info:
; codeLenInByte = 1088
; TotalNumSgprs: 62
; NumVgprs: 18
; ScratchSize: 0
; MemoryBound: 0
; FloatMode: 240
; IeeeMode: 1
; LDSByteSize: 0 bytes/workgroup (compile time only)
; SGPRBlocks: 7
; VGPRBlocks: 4
; NumSGPRsForWavesPerEU: 62
; NumVGPRsForWavesPerEU: 18
; Occupancy: 10
; WaveLimiterHint : 1
; COMPUTE_PGM_RSRC2:SCRATCH_EN: 0
; COMPUTE_PGM_RSRC2:USER_SGPR: 6
; COMPUTE_PGM_RSRC2:TRAP_HANDLER: 0
; COMPUTE_PGM_RSRC2:TGID_X_EN: 1
; COMPUTE_PGM_RSRC2:TGID_Y_EN: 0
; COMPUTE_PGM_RSRC2:TGID_Z_EN: 0
; COMPUTE_PGM_RSRC2:TIDIG_COMP_CNT: 0
	.section	.text._ZN2at6native12cross_kernelIN3c107complexIdEE16OffsetCalculatorILi3EjLb0EElEEviPT_PKS7_SA_T0_T1_SC_SC_,"axG",@progbits,_ZN2at6native12cross_kernelIN3c107complexIdEE16OffsetCalculatorILi3EjLb0EElEEviPT_PKS7_SA_T0_T1_SC_SC_,comdat
	.protected	_ZN2at6native12cross_kernelIN3c107complexIdEE16OffsetCalculatorILi3EjLb0EElEEviPT_PKS7_SA_T0_T1_SC_SC_ ; -- Begin function _ZN2at6native12cross_kernelIN3c107complexIdEE16OffsetCalculatorILi3EjLb0EElEEviPT_PKS7_SA_T0_T1_SC_SC_
	.globl	_ZN2at6native12cross_kernelIN3c107complexIdEE16OffsetCalculatorILi3EjLb0EElEEviPT_PKS7_SA_T0_T1_SC_SC_
	.p2align	8
	.type	_ZN2at6native12cross_kernelIN3c107complexIdEE16OffsetCalculatorILi3EjLb0EElEEviPT_PKS7_SA_T0_T1_SC_SC_,@function
_ZN2at6native12cross_kernelIN3c107complexIdEE16OffsetCalculatorILi3EjLb0EElEEviPT_PKS7_SA_T0_T1_SC_SC_: ; @_ZN2at6native12cross_kernelIN3c107complexIdEE16OffsetCalculatorILi3EjLb0EElEEviPT_PKS7_SA_T0_T1_SC_SC_
; %bb.0:
	s_load_dword s24, s[4:5], 0x0
	s_load_dword s2, s[4:5], 0x1cc
	v_mov_b32_e32 v1, 0
	v_mov_b32_e32 v2, s6
	s_waitcnt lgkmcnt(0)
	s_ashr_i32 s25, s24, 31
	s_add_u32 s0, s4, 0x1c0
	s_addc_u32 s1, s5, 0
	s_and_b32 s2, s2, 0xffff
	v_mad_u64_u32 v[2:3], s[6:7], s2, v2, v[0:1]
	v_cmp_gt_i64_e32 vcc, s[24:25], v[2:3]
	s_and_saveexec_b64 s[6:7], vcc
	s_cbranch_execz .LBB14_13
; %bb.1:
	s_load_dwordx4 s[16:19], s[4:5], 0x8
	s_load_dwordx2 s[28:29], s[4:5], 0x18
	s_load_dwordx8 s[8:15], s[4:5], 0x20
	s_load_dwordx2 s[6:7], s[4:5], 0x1b8
	s_load_dwordx4 s[48:51], s[4:5], 0x1a8
	s_load_dword s3, s[0:1], 0x0
	s_add_u32 s26, s4, 8
	s_waitcnt lgkmcnt(0)
	v_sub_co_u32_e64 v0, s[0:1], s8, 1
	v_readfirstlane_b32 s15, v0
	s_addc_u32 s27, s5, 0
	s_xor_b64 s[0:1], s[0:1], -1
	s_min_u32 s33, s15, 15
	s_cmp_gt_u32 s8, 1
	s_cselect_b64 s[34:35], -1, 0
	s_mov_b32 s8, s13
	s_mul_i32 s13, s3, s2
	s_add_i32 s2, s33, 1
	s_load_dwordx4 s[20:23], s[4:5], 0xe4
	s_load_dwordx2 s[30:31], s[4:5], 0xf4
	s_lshl_b64 s[36:37], s[6:7], 5
	s_and_b32 s15, s2, 30
	s_bitcmp0_b32 s33, 0
	s_cselect_b64 s[2:3], -1, 0
	s_lshl_b64 s[38:39], s[50:51], 4
	s_lshl_b64 s[4:5], s[6:7], 4
	v_cmp_lt_u32_e32 vcc, 1, v0
	s_sub_u32 s33, 0, s4
	v_cndmask_b32_e64 v0, 0, 1, vcc
	v_cndmask_b32_e64 v4, 0, 1, s[0:1]
	v_cndmask_b32_e64 v5, 0, 1, s[2:3]
	s_mov_b64 s[40:41], 0
	s_subb_u32 s44, 0, s5
	s_lshl_b64 s[42:43], s[48:49], 4
	v_cmp_ne_u32_e64 s[0:1], 1, v0
	v_cmp_ne_u32_e64 s[2:3], 1, v4
	;; [unrolled: 1-line block ×3, first 2 shown]
	s_branch .LBB14_3
.LBB14_2:                               ;   in Loop: Header=BB14_3 Depth=1
	v_mov_b32_e32 v7, v1
	v_lshlrev_b64 v[5:6], 4, v[6:7]
	v_mov_b32_e32 v7, s19
	v_add_co_u32_e32 v20, vcc, s18, v5
	v_mov_b32_e32 v5, v1
	v_lshlrev_b64 v[4:5], 4, v[4:5]
	v_addc_co_u32_e32 v21, vcc, v7, v6, vcc
	v_mov_b32_e32 v6, s29
	v_add_co_u32_e32 v22, vcc, s28, v4
	v_addc_co_u32_e32 v23, vcc, v6, v5, vcc
	v_mov_b32_e32 v28, s39
	v_add_co_u32_e32 v24, vcc, s38, v20
	;; [unrolled: 3-line block ×3, first 2 shown]
	v_addc_co_u32_e32 v27, vcc, v23, v4, vcc
	global_load_dwordx4 v[4:7], v[26:27], off
	global_load_dwordx4 v[8:11], v[24:25], off
	;; [unrolled: 1-line block ×4, first 2 shown]
	v_add_co_u32_e32 v20, vcc, s38, v24
	v_addc_co_u32_e32 v21, vcc, v25, v28, vcc
	global_load_dwordx4 v[20:23], v[20:21], off
	v_mov_b32_e32 v25, s44
	v_add_co_u32_e32 v24, vcc, s33, v26
	v_addc_co_u32_e32 v25, vcc, v27, v25, vcc
	global_load_dwordx4 v[24:27], v[24:25], off
	v_add_co_u32_e32 v2, vcc, s13, v2
	v_addc_co_u32_e32 v3, vcc, 0, v3, vcc
	v_cmp_le_i64_e32 vcc, s[24:25], v[2:3]
	s_or_b64 s[40:41], vcc, s[40:41]
	s_waitcnt vmcnt(4)
	v_mul_f64 v[28:29], v[6:7], v[10:11]
	v_mul_f64 v[30:31], v[4:5], v[10:11]
	s_waitcnt vmcnt(3)
	v_mul_f64 v[32:33], v[6:7], v[14:15]
	v_mul_f64 v[34:35], v[4:5], v[14:15]
	v_fma_f64 v[28:29], v[4:5], v[8:9], -v[28:29]
	v_fma_f64 v[30:31], v[6:7], v[8:9], v[30:31]
	v_fma_f64 v[32:33], v[4:5], v[12:13], -v[32:33]
	v_fma_f64 v[34:35], v[6:7], v[12:13], v[34:35]
	s_waitcnt vmcnt(2)
	v_mul_f64 v[4:5], v[10:11], v[18:19]
	v_mul_f64 v[6:7], v[8:9], v[18:19]
	v_fma_f64 v[36:37], v[8:9], v[16:17], -v[4:5]
	v_fma_f64 v[38:39], v[10:11], v[16:17], v[6:7]
	s_waitcnt vmcnt(1)
	v_mul_f64 v[4:5], v[22:23], v[18:19]
	v_mul_f64 v[6:7], v[20:21], v[18:19]
	v_fma_f64 v[8:9], v[20:21], v[16:17], -v[4:5]
	v_fma_f64 v[10:11], v[22:23], v[16:17], v[6:7]
	s_waitcnt vmcnt(0)
	v_mul_f64 v[4:5], v[26:27], v[22:23]
	v_mul_f64 v[6:7], v[24:25], v[22:23]
	v_mul_f64 v[16:17], v[26:27], v[14:15]
	v_mul_f64 v[14:15], v[24:25], v[14:15]
	v_mov_b32_e32 v22, s43
	v_add_f64 v[8:9], v[8:9], -v[32:33]
	v_add_f64 v[10:11], v[10:11], -v[34:35]
	v_fma_f64 v[4:5], v[24:25], v[20:21], -v[4:5]
	v_fma_f64 v[6:7], v[26:27], v[20:21], v[6:7]
	v_fma_f64 v[16:17], v[24:25], v[12:13], -v[16:17]
	v_fma_f64 v[14:15], v[26:27], v[12:13], v[14:15]
	v_lshlrev_b64 v[12:13], 4, v[0:1]
	v_mov_b32_e32 v0, s17
	v_add_co_u32_e64 v18, s[6:7], s16, v12
	v_add_f64 v[4:5], v[28:29], -v[4:5]
	v_add_f64 v[6:7], v[30:31], -v[6:7]
	v_addc_co_u32_e64 v19, s[6:7], v0, v13, s[6:7]
	v_add_f64 v[12:13], v[16:17], -v[36:37]
	v_add_f64 v[14:15], v[14:15], -v[38:39]
	v_add_co_u32_e64 v20, s[6:7], s42, v18
	v_addc_co_u32_e64 v21, s[6:7], v19, v22, s[6:7]
	v_add_co_u32_e32 v16, vcc, s42, v20
	v_addc_co_u32_e32 v17, vcc, v21, v22, vcc
	global_store_dwordx4 v[18:19], v[4:7], off
	global_store_dwordx4 v[20:21], v[8:11], off
	;; [unrolled: 1-line block ×3, first 2 shown]
	s_andn2_b64 exec, exec, s[40:41]
	s_cbranch_execz .LBB14_13
.LBB14_3:                               ; =>This Loop Header: Depth=1
                                        ;     Child Loop BB14_6 Depth 2
	s_and_b64 vcc, exec, s[0:1]
	s_mov_b64 s[6:7], -1
                                        ; implicit-def: $vgpr6
                                        ; implicit-def: $vgpr4
	s_cbranch_vccnz .LBB14_10
; %bb.4:                                ;   in Loop: Header=BB14_3 Depth=1
	v_mov_b32_e32 v0, 0
	s_and_b64 vcc, exec, s[2:3]
	v_mov_b32_e32 v6, 0
	v_mov_b32_e32 v4, 0
	s_cbranch_vccnz .LBB14_9
; %bb.5:                                ;   in Loop: Header=BB14_3 Depth=1
	v_mov_b32_e32 v4, 0
	s_mov_b32 s45, s15
	s_mov_b64 s[6:7], s[26:27]
	v_mov_b32_e32 v6, 0
	v_mov_b32_e32 v0, v4
	;; [unrolled: 1-line block ×3, first 2 shown]
.LBB14_6:                               ;   Parent Loop BB14_3 Depth=1
                                        ; =>  This Inner Loop Header: Depth=2
	s_load_dwordx4 s[48:51], s[6:7], 0x1c
	s_load_dwordx2 s[46:47], s[6:7], 0x2c
	s_load_dwordx2 s[56:57], s[6:7], 0xec
	s_load_dwordx4 s[52:55], s[6:7], 0xdc
	s_add_u32 s6, s6, 24
	s_waitcnt lgkmcnt(0)
	v_mul_hi_u32 v7, s49, v5
	s_addc_u32 s7, s7, 0
	s_add_i32 s45, s45, -2
	s_cmp_lg_u32 s45, 0
	v_add_u32_e32 v7, v5, v7
	v_lshrrev_b32_e32 v7, s50, v7
	v_mul_lo_u32 v8, v7, s48
	v_mul_hi_u32 v9, s46, v7
	v_sub_u32_e32 v8, v5, v8
	v_add_u32_e32 v5, v7, v9
	v_lshrrev_b32_e32 v5, s47, v5
	v_mul_lo_u32 v11, v5, s51
	v_mul_lo_u32 v9, v8, s52
	;; [unrolled: 1-line block ×4, first 2 shown]
	v_sub_u32_e32 v7, v7, v11
	v_mul_lo_u32 v11, v7, s55
	v_mul_lo_u32 v12, v7, s56
	;; [unrolled: 1-line block ×3, first 2 shown]
	v_add3_u32 v0, v9, v0, v11
	v_add3_u32 v6, v10, v6, v12
	;; [unrolled: 1-line block ×3, first 2 shown]
	s_cbranch_scc1 .LBB14_6
; %bb.7:                                ;   in Loop: Header=BB14_3 Depth=1
	s_and_b64 vcc, exec, s[4:5]
	s_cbranch_vccnz .LBB14_9
; %bb.8:                                ;   in Loop: Header=BB14_3 Depth=1
	s_load_dwordx2 s[46:47], s[6:7], 0x1c
	s_load_dword s45, s[6:7], 0x24
	s_load_dwordx2 s[48:49], s[6:7], 0xdc
	s_waitcnt lgkmcnt(0)
	v_mul_hi_u32 v7, s47, v5
	v_add_u32_e32 v7, v5, v7
	v_lshrrev_b32_e32 v7, s45, v7
	v_mul_lo_u32 v7, v7, s46
	s_load_dword s45, s[6:7], 0xe4
	v_sub_u32_e32 v5, v5, v7
	v_mad_u64_u32 v[8:9], s[6:7], v5, s48, v[0:1]
	v_mad_u64_u32 v[6:7], s[6:7], v5, s49, v[6:7]
	s_waitcnt lgkmcnt(0)
	v_mad_u64_u32 v[4:5], s[6:7], v5, s45, v[4:5]
	v_mov_b32_e32 v0, v8
.LBB14_9:                               ;   in Loop: Header=BB14_3 Depth=1
	s_mov_b64 s[6:7], 0
.LBB14_10:                              ;   in Loop: Header=BB14_3 Depth=1
	s_andn2_b64 vcc, exec, s[6:7]
	s_cbranch_vccnz .LBB14_2
; %bb.11:                               ;   in Loop: Header=BB14_3 Depth=1
	v_mul_lo_u32 v0, v3, s10
	v_mul_hi_u32 v4, v2, s10
	s_andn2_b64 vcc, exec, s[34:35]
	v_add3_u32 v0, v4, v0, v2
	v_lshrrev_b32_e32 v5, s11, v0
	v_mul_lo_u32 v0, v5, s9
	v_sub_u32_e32 v4, v2, v0
	s_waitcnt lgkmcnt(0)
	v_mul_lo_u32 v0, v4, s20
	v_mul_lo_u32 v6, v4, s21
	;; [unrolled: 1-line block ×3, first 2 shown]
	s_cbranch_vccnz .LBB14_2
; %bb.12:                               ;   in Loop: Header=BB14_3 Depth=1
	v_mul_hi_u32 v7, s8, v5
	v_add_u32_e32 v7, v5, v7
	v_lshrrev_b32_e32 v7, s14, v7
	v_mul_lo_u32 v7, v7, s12
	v_sub_u32_e32 v5, v5, v7
	v_mad_u64_u32 v[8:9], s[6:7], v5, s23, v[0:1]
	v_mad_u64_u32 v[6:7], s[6:7], v5, s30, v[6:7]
	;; [unrolled: 1-line block ×3, first 2 shown]
	v_mov_b32_e32 v0, v8
	s_branch .LBB14_2
.LBB14_13:
	s_endpgm
	.section	.rodata,"a",@progbits
	.p2align	6, 0x0
	.amdhsa_kernel _ZN2at6native12cross_kernelIN3c107complexIdEE16OffsetCalculatorILi3EjLb0EElEEviPT_PKS7_SA_T0_T1_SC_SC_
		.amdhsa_group_segment_fixed_size 0
		.amdhsa_private_segment_fixed_size 0
		.amdhsa_kernarg_size 704
		.amdhsa_user_sgpr_count 6
		.amdhsa_user_sgpr_private_segment_buffer 1
		.amdhsa_user_sgpr_dispatch_ptr 0
		.amdhsa_user_sgpr_queue_ptr 0
		.amdhsa_user_sgpr_kernarg_segment_ptr 1
		.amdhsa_user_sgpr_dispatch_id 0
		.amdhsa_user_sgpr_flat_scratch_init 0
		.amdhsa_user_sgpr_private_segment_size 0
		.amdhsa_uses_dynamic_stack 0
		.amdhsa_system_sgpr_private_segment_wavefront_offset 0
		.amdhsa_system_sgpr_workgroup_id_x 1
		.amdhsa_system_sgpr_workgroup_id_y 0
		.amdhsa_system_sgpr_workgroup_id_z 0
		.amdhsa_system_sgpr_workgroup_info 0
		.amdhsa_system_vgpr_workitem_id 0
		.amdhsa_next_free_vgpr 40
		.amdhsa_next_free_sgpr 58
		.amdhsa_reserve_vcc 1
		.amdhsa_reserve_flat_scratch 0
		.amdhsa_float_round_mode_32 0
		.amdhsa_float_round_mode_16_64 0
		.amdhsa_float_denorm_mode_32 3
		.amdhsa_float_denorm_mode_16_64 3
		.amdhsa_dx10_clamp 1
		.amdhsa_ieee_mode 1
		.amdhsa_fp16_overflow 0
		.amdhsa_exception_fp_ieee_invalid_op 0
		.amdhsa_exception_fp_denorm_src 0
		.amdhsa_exception_fp_ieee_div_zero 0
		.amdhsa_exception_fp_ieee_overflow 0
		.amdhsa_exception_fp_ieee_underflow 0
		.amdhsa_exception_fp_ieee_inexact 0
		.amdhsa_exception_int_div_zero 0
	.end_amdhsa_kernel
	.section	.text._ZN2at6native12cross_kernelIN3c107complexIdEE16OffsetCalculatorILi3EjLb0EElEEviPT_PKS7_SA_T0_T1_SC_SC_,"axG",@progbits,_ZN2at6native12cross_kernelIN3c107complexIdEE16OffsetCalculatorILi3EjLb0EElEEviPT_PKS7_SA_T0_T1_SC_SC_,comdat
.Lfunc_end14:
	.size	_ZN2at6native12cross_kernelIN3c107complexIdEE16OffsetCalculatorILi3EjLb0EElEEviPT_PKS7_SA_T0_T1_SC_SC_, .Lfunc_end14-_ZN2at6native12cross_kernelIN3c107complexIdEE16OffsetCalculatorILi3EjLb0EElEEviPT_PKS7_SA_T0_T1_SC_SC_
                                        ; -- End function
	.set _ZN2at6native12cross_kernelIN3c107complexIdEE16OffsetCalculatorILi3EjLb0EElEEviPT_PKS7_SA_T0_T1_SC_SC_.num_vgpr, 40
	.set _ZN2at6native12cross_kernelIN3c107complexIdEE16OffsetCalculatorILi3EjLb0EElEEviPT_PKS7_SA_T0_T1_SC_SC_.num_agpr, 0
	.set _ZN2at6native12cross_kernelIN3c107complexIdEE16OffsetCalculatorILi3EjLb0EElEEviPT_PKS7_SA_T0_T1_SC_SC_.numbered_sgpr, 58
	.set _ZN2at6native12cross_kernelIN3c107complexIdEE16OffsetCalculatorILi3EjLb0EElEEviPT_PKS7_SA_T0_T1_SC_SC_.num_named_barrier, 0
	.set _ZN2at6native12cross_kernelIN3c107complexIdEE16OffsetCalculatorILi3EjLb0EElEEviPT_PKS7_SA_T0_T1_SC_SC_.private_seg_size, 0
	.set _ZN2at6native12cross_kernelIN3c107complexIdEE16OffsetCalculatorILi3EjLb0EElEEviPT_PKS7_SA_T0_T1_SC_SC_.uses_vcc, 1
	.set _ZN2at6native12cross_kernelIN3c107complexIdEE16OffsetCalculatorILi3EjLb0EElEEviPT_PKS7_SA_T0_T1_SC_SC_.uses_flat_scratch, 0
	.set _ZN2at6native12cross_kernelIN3c107complexIdEE16OffsetCalculatorILi3EjLb0EElEEviPT_PKS7_SA_T0_T1_SC_SC_.has_dyn_sized_stack, 0
	.set _ZN2at6native12cross_kernelIN3c107complexIdEE16OffsetCalculatorILi3EjLb0EElEEviPT_PKS7_SA_T0_T1_SC_SC_.has_recursion, 0
	.set _ZN2at6native12cross_kernelIN3c107complexIdEE16OffsetCalculatorILi3EjLb0EElEEviPT_PKS7_SA_T0_T1_SC_SC_.has_indirect_call, 0
	.section	.AMDGPU.csdata,"",@progbits
; Kernel info:
; codeLenInByte = 1284
; TotalNumSgprs: 62
; NumVgprs: 40
; ScratchSize: 0
; MemoryBound: 0
; FloatMode: 240
; IeeeMode: 1
; LDSByteSize: 0 bytes/workgroup (compile time only)
; SGPRBlocks: 7
; VGPRBlocks: 9
; NumSGPRsForWavesPerEU: 62
; NumVGPRsForWavesPerEU: 40
; Occupancy: 6
; WaveLimiterHint : 1
; COMPUTE_PGM_RSRC2:SCRATCH_EN: 0
; COMPUTE_PGM_RSRC2:USER_SGPR: 6
; COMPUTE_PGM_RSRC2:TRAP_HANDLER: 0
; COMPUTE_PGM_RSRC2:TGID_X_EN: 1
; COMPUTE_PGM_RSRC2:TGID_Y_EN: 0
; COMPUTE_PGM_RSRC2:TGID_Z_EN: 0
; COMPUTE_PGM_RSRC2:TIDIG_COMP_CNT: 0
	.section	.text._ZN2at6native12cross_kernelIN3c107complexIdEE16OffsetCalculatorILi3EjLb0EEiEEviPT_PKS7_SA_T0_T1_SC_SC_,"axG",@progbits,_ZN2at6native12cross_kernelIN3c107complexIdEE16OffsetCalculatorILi3EjLb0EEiEEviPT_PKS7_SA_T0_T1_SC_SC_,comdat
	.protected	_ZN2at6native12cross_kernelIN3c107complexIdEE16OffsetCalculatorILi3EjLb0EEiEEviPT_PKS7_SA_T0_T1_SC_SC_ ; -- Begin function _ZN2at6native12cross_kernelIN3c107complexIdEE16OffsetCalculatorILi3EjLb0EEiEEviPT_PKS7_SA_T0_T1_SC_SC_
	.globl	_ZN2at6native12cross_kernelIN3c107complexIdEE16OffsetCalculatorILi3EjLb0EEiEEviPT_PKS7_SA_T0_T1_SC_SC_
	.p2align	8
	.type	_ZN2at6native12cross_kernelIN3c107complexIdEE16OffsetCalculatorILi3EjLb0EEiEEviPT_PKS7_SA_T0_T1_SC_SC_,@function
_ZN2at6native12cross_kernelIN3c107complexIdEE16OffsetCalculatorILi3EjLb0EEiEEviPT_PKS7_SA_T0_T1_SC_SC_: ; @_ZN2at6native12cross_kernelIN3c107complexIdEE16OffsetCalculatorILi3EjLb0EEiEEviPT_PKS7_SA_T0_T1_SC_SC_
; %bb.0:
	s_load_dword s24, s[4:5], 0x0
	s_load_dword s2, s[4:5], 0x1bc
	v_mov_b32_e32 v1, 0
	v_mov_b32_e32 v2, s6
	s_waitcnt lgkmcnt(0)
	s_ashr_i32 s25, s24, 31
	s_add_u32 s0, s4, 0x1b0
	s_addc_u32 s1, s5, 0
	s_and_b32 s2, s2, 0xffff
	v_mad_u64_u32 v[2:3], s[6:7], s2, v2, v[0:1]
	v_cmp_gt_i64_e32 vcc, s[24:25], v[2:3]
	s_and_saveexec_b64 s[6:7], vcc
	s_cbranch_execz .LBB15_13
; %bb.1:
	s_load_dwordx8 s[8:15], s[4:5], 0x20
	s_load_dwordx4 s[16:19], s[4:5], 0x8
	s_load_dwordx2 s[28:29], s[4:5], 0x18
	s_load_dwordx4 s[40:43], s[4:5], 0x1a4
	s_load_dword s3, s[0:1], 0x0
	s_waitcnt lgkmcnt(0)
	v_sub_co_u32_e64 v0, s[0:1], s8, 1
	s_add_u32 s26, s4, 8
	v_readfirstlane_b32 s6, v0
	s_addc_u32 s27, s5, 0
	s_xor_b64 s[0:1], s[0:1], -1
	s_min_u32 s33, s6, 15
	s_cmp_gt_u32 s8, 1
	s_cselect_b64 s[34:35], -1, 0
	s_mov_b32 s8, s13
	s_lshl_b32 s6, s42, 1
	s_mul_i32 s13, s3, s2
	s_add_i32 s2, s33, 1
	s_load_dwordx4 s[20:23], s[4:5], 0xe4
	s_load_dwordx2 s[30:31], s[4:5], 0xf4
	s_ashr_i32 s5, s41, 31
	s_mov_b32 s4, s41
	s_ashr_i32 s7, s6, 31
	s_ashr_i32 s41, s40, 31
	s_and_b32 s15, s2, 30
	s_bitcmp0_b32 s33, 0
	s_cselect_b64 s[2:3], -1, 0
	s_ashr_i32 s43, s42, 31
	s_lshl_b64 s[36:37], s[4:5], 4
	s_lshl_b64 s[4:5], s[42:43], 4
	v_cmp_lt_u32_e32 vcc, 1, v0
	s_sub_u32 s33, 0, s4
	v_cndmask_b32_e64 v0, 0, 1, vcc
	v_cndmask_b32_e64 v4, 0, 1, s[0:1]
	v_cndmask_b32_e64 v5, 0, 1, s[2:3]
	s_mov_b64 s[38:39], 0
	s_subb_u32 s44, 0, s5
	s_lshl_b64 s[40:41], s[40:41], 4
	s_lshl_b64 s[42:43], s[6:7], 4
	v_cmp_ne_u32_e64 s[0:1], 1, v0
	v_cmp_ne_u32_e64 s[2:3], 1, v4
	;; [unrolled: 1-line block ×3, first 2 shown]
	s_branch .LBB15_3
.LBB15_2:                               ;   in Loop: Header=BB15_3 Depth=1
	v_mov_b32_e32 v7, v1
	v_lshlrev_b64 v[5:6], 4, v[6:7]
	v_mov_b32_e32 v7, s19
	v_add_co_u32_e32 v20, vcc, s18, v5
	v_mov_b32_e32 v5, v1
	v_lshlrev_b64 v[4:5], 4, v[4:5]
	v_addc_co_u32_e32 v21, vcc, v7, v6, vcc
	v_mov_b32_e32 v6, s29
	v_add_co_u32_e32 v22, vcc, s28, v4
	v_addc_co_u32_e32 v23, vcc, v6, v5, vcc
	v_mov_b32_e32 v28, s37
	v_add_co_u32_e32 v24, vcc, s36, v20
	;; [unrolled: 3-line block ×3, first 2 shown]
	v_addc_co_u32_e32 v27, vcc, v23, v4, vcc
	global_load_dwordx4 v[4:7], v[26:27], off
	global_load_dwordx4 v[8:11], v[24:25], off
	;; [unrolled: 1-line block ×4, first 2 shown]
	v_add_co_u32_e32 v20, vcc, s36, v24
	v_addc_co_u32_e32 v21, vcc, v25, v28, vcc
	global_load_dwordx4 v[20:23], v[20:21], off
	v_mov_b32_e32 v25, s44
	v_add_co_u32_e32 v24, vcc, s33, v26
	v_addc_co_u32_e32 v25, vcc, v27, v25, vcc
	global_load_dwordx4 v[24:27], v[24:25], off
	v_add_co_u32_e32 v2, vcc, s13, v2
	v_addc_co_u32_e32 v3, vcc, 0, v3, vcc
	v_cmp_le_i64_e32 vcc, s[24:25], v[2:3]
	s_or_b64 s[38:39], vcc, s[38:39]
	s_waitcnt vmcnt(4)
	v_mul_f64 v[28:29], v[6:7], v[10:11]
	v_mul_f64 v[30:31], v[4:5], v[10:11]
	s_waitcnt vmcnt(3)
	v_mul_f64 v[32:33], v[6:7], v[14:15]
	v_mul_f64 v[34:35], v[4:5], v[14:15]
	v_fma_f64 v[28:29], v[4:5], v[8:9], -v[28:29]
	v_fma_f64 v[30:31], v[6:7], v[8:9], v[30:31]
	v_fma_f64 v[32:33], v[4:5], v[12:13], -v[32:33]
	v_fma_f64 v[34:35], v[6:7], v[12:13], v[34:35]
	s_waitcnt vmcnt(2)
	v_mul_f64 v[4:5], v[10:11], v[18:19]
	v_mul_f64 v[6:7], v[8:9], v[18:19]
	v_fma_f64 v[36:37], v[8:9], v[16:17], -v[4:5]
	v_fma_f64 v[38:39], v[10:11], v[16:17], v[6:7]
	s_waitcnt vmcnt(1)
	v_mul_f64 v[4:5], v[22:23], v[18:19]
	v_mul_f64 v[6:7], v[20:21], v[18:19]
	;; [unrolled: 5-line block ×3, first 2 shown]
	v_mul_f64 v[16:17], v[26:27], v[14:15]
	v_mul_f64 v[14:15], v[24:25], v[14:15]
	v_mov_b32_e32 v22, s41
	v_add_f64 v[8:9], v[8:9], -v[32:33]
	v_add_f64 v[10:11], v[10:11], -v[34:35]
	v_fma_f64 v[4:5], v[24:25], v[20:21], -v[4:5]
	v_fma_f64 v[6:7], v[26:27], v[20:21], v[6:7]
	v_fma_f64 v[16:17], v[24:25], v[12:13], -v[16:17]
	v_fma_f64 v[14:15], v[26:27], v[12:13], v[14:15]
	v_lshlrev_b64 v[12:13], 4, v[0:1]
	v_mov_b32_e32 v0, s17
	v_add_co_u32_e64 v18, s[6:7], s16, v12
	v_add_f64 v[4:5], v[28:29], -v[4:5]
	v_add_f64 v[6:7], v[30:31], -v[6:7]
	v_addc_co_u32_e64 v19, s[6:7], v0, v13, s[6:7]
	v_add_f64 v[12:13], v[16:17], -v[36:37]
	v_add_f64 v[14:15], v[14:15], -v[38:39]
	v_add_co_u32_e64 v20, s[6:7], s40, v18
	v_addc_co_u32_e64 v21, s[6:7], v19, v22, s[6:7]
	v_add_co_u32_e32 v16, vcc, s40, v20
	v_addc_co_u32_e32 v17, vcc, v21, v22, vcc
	global_store_dwordx4 v[18:19], v[4:7], off
	global_store_dwordx4 v[20:21], v[8:11], off
	;; [unrolled: 1-line block ×3, first 2 shown]
	s_andn2_b64 exec, exec, s[38:39]
	s_cbranch_execz .LBB15_13
.LBB15_3:                               ; =>This Loop Header: Depth=1
                                        ;     Child Loop BB15_6 Depth 2
	s_and_b64 vcc, exec, s[0:1]
	s_mov_b64 s[6:7], -1
                                        ; implicit-def: $vgpr6
                                        ; implicit-def: $vgpr4
	s_cbranch_vccnz .LBB15_10
; %bb.4:                                ;   in Loop: Header=BB15_3 Depth=1
	v_mov_b32_e32 v0, 0
	s_and_b64 vcc, exec, s[2:3]
	v_mov_b32_e32 v6, 0
	v_mov_b32_e32 v4, 0
	s_cbranch_vccnz .LBB15_9
; %bb.5:                                ;   in Loop: Header=BB15_3 Depth=1
	v_mov_b32_e32 v4, 0
	s_mov_b32 s45, s15
	s_mov_b64 s[6:7], s[26:27]
	v_mov_b32_e32 v6, 0
	v_mov_b32_e32 v0, v4
	;; [unrolled: 1-line block ×3, first 2 shown]
.LBB15_6:                               ;   Parent Loop BB15_3 Depth=1
                                        ; =>  This Inner Loop Header: Depth=2
	s_load_dwordx4 s[48:51], s[6:7], 0x1c
	s_load_dwordx2 s[46:47], s[6:7], 0x2c
	s_load_dwordx2 s[56:57], s[6:7], 0xec
	s_load_dwordx4 s[52:55], s[6:7], 0xdc
	s_add_u32 s6, s6, 24
	s_waitcnt lgkmcnt(0)
	v_mul_hi_u32 v7, s49, v5
	s_addc_u32 s7, s7, 0
	s_add_i32 s45, s45, -2
	s_cmp_lg_u32 s45, 0
	v_add_u32_e32 v7, v5, v7
	v_lshrrev_b32_e32 v7, s50, v7
	v_mul_lo_u32 v8, v7, s48
	v_mul_hi_u32 v9, s46, v7
	v_sub_u32_e32 v8, v5, v8
	v_add_u32_e32 v5, v7, v9
	v_lshrrev_b32_e32 v5, s47, v5
	v_mul_lo_u32 v11, v5, s51
	v_mul_lo_u32 v9, v8, s52
	;; [unrolled: 1-line block ×4, first 2 shown]
	v_sub_u32_e32 v7, v7, v11
	v_mul_lo_u32 v11, v7, s55
	v_mul_lo_u32 v12, v7, s56
	;; [unrolled: 1-line block ×3, first 2 shown]
	v_add3_u32 v0, v9, v0, v11
	v_add3_u32 v6, v10, v6, v12
	;; [unrolled: 1-line block ×3, first 2 shown]
	s_cbranch_scc1 .LBB15_6
; %bb.7:                                ;   in Loop: Header=BB15_3 Depth=1
	s_and_b64 vcc, exec, s[4:5]
	s_cbranch_vccnz .LBB15_9
; %bb.8:                                ;   in Loop: Header=BB15_3 Depth=1
	s_load_dwordx2 s[46:47], s[6:7], 0x1c
	s_load_dword s45, s[6:7], 0x24
	s_load_dwordx2 s[48:49], s[6:7], 0xdc
	s_waitcnt lgkmcnt(0)
	v_mul_hi_u32 v7, s47, v5
	v_add_u32_e32 v7, v5, v7
	v_lshrrev_b32_e32 v7, s45, v7
	v_mul_lo_u32 v7, v7, s46
	s_load_dword s45, s[6:7], 0xe4
	v_sub_u32_e32 v5, v5, v7
	v_mad_u64_u32 v[8:9], s[6:7], v5, s48, v[0:1]
	v_mad_u64_u32 v[6:7], s[6:7], v5, s49, v[6:7]
	s_waitcnt lgkmcnt(0)
	v_mad_u64_u32 v[4:5], s[6:7], v5, s45, v[4:5]
	v_mov_b32_e32 v0, v8
.LBB15_9:                               ;   in Loop: Header=BB15_3 Depth=1
	s_mov_b64 s[6:7], 0
.LBB15_10:                              ;   in Loop: Header=BB15_3 Depth=1
	s_andn2_b64 vcc, exec, s[6:7]
	s_cbranch_vccnz .LBB15_2
; %bb.11:                               ;   in Loop: Header=BB15_3 Depth=1
	v_mul_lo_u32 v0, v3, s10
	v_mul_hi_u32 v4, v2, s10
	s_andn2_b64 vcc, exec, s[34:35]
	v_add3_u32 v0, v4, v0, v2
	v_lshrrev_b32_e32 v5, s11, v0
	v_mul_lo_u32 v0, v5, s9
	v_sub_u32_e32 v4, v2, v0
	s_waitcnt lgkmcnt(0)
	v_mul_lo_u32 v0, v4, s20
	v_mul_lo_u32 v6, v4, s21
	;; [unrolled: 1-line block ×3, first 2 shown]
	s_cbranch_vccnz .LBB15_2
; %bb.12:                               ;   in Loop: Header=BB15_3 Depth=1
	v_mul_hi_u32 v7, s8, v5
	v_add_u32_e32 v7, v5, v7
	v_lshrrev_b32_e32 v7, s14, v7
	v_mul_lo_u32 v7, v7, s12
	v_sub_u32_e32 v5, v5, v7
	v_mad_u64_u32 v[8:9], s[6:7], v5, s23, v[0:1]
	v_mad_u64_u32 v[6:7], s[6:7], v5, s30, v[6:7]
	;; [unrolled: 1-line block ×3, first 2 shown]
	v_mov_b32_e32 v0, v8
	s_branch .LBB15_2
.LBB15_13:
	s_endpgm
	.section	.rodata,"a",@progbits
	.p2align	6, 0x0
	.amdhsa_kernel _ZN2at6native12cross_kernelIN3c107complexIdEE16OffsetCalculatorILi3EjLb0EEiEEviPT_PKS7_SA_T0_T1_SC_SC_
		.amdhsa_group_segment_fixed_size 0
		.amdhsa_private_segment_fixed_size 0
		.amdhsa_kernarg_size 688
		.amdhsa_user_sgpr_count 6
		.amdhsa_user_sgpr_private_segment_buffer 1
		.amdhsa_user_sgpr_dispatch_ptr 0
		.amdhsa_user_sgpr_queue_ptr 0
		.amdhsa_user_sgpr_kernarg_segment_ptr 1
		.amdhsa_user_sgpr_dispatch_id 0
		.amdhsa_user_sgpr_flat_scratch_init 0
		.amdhsa_user_sgpr_private_segment_size 0
		.amdhsa_uses_dynamic_stack 0
		.amdhsa_system_sgpr_private_segment_wavefront_offset 0
		.amdhsa_system_sgpr_workgroup_id_x 1
		.amdhsa_system_sgpr_workgroup_id_y 0
		.amdhsa_system_sgpr_workgroup_id_z 0
		.amdhsa_system_sgpr_workgroup_info 0
		.amdhsa_system_vgpr_workitem_id 0
		.amdhsa_next_free_vgpr 40
		.amdhsa_next_free_sgpr 58
		.amdhsa_reserve_vcc 1
		.amdhsa_reserve_flat_scratch 0
		.amdhsa_float_round_mode_32 0
		.amdhsa_float_round_mode_16_64 0
		.amdhsa_float_denorm_mode_32 3
		.amdhsa_float_denorm_mode_16_64 3
		.amdhsa_dx10_clamp 1
		.amdhsa_ieee_mode 1
		.amdhsa_fp16_overflow 0
		.amdhsa_exception_fp_ieee_invalid_op 0
		.amdhsa_exception_fp_denorm_src 0
		.amdhsa_exception_fp_ieee_div_zero 0
		.amdhsa_exception_fp_ieee_overflow 0
		.amdhsa_exception_fp_ieee_underflow 0
		.amdhsa_exception_fp_ieee_inexact 0
		.amdhsa_exception_int_div_zero 0
	.end_amdhsa_kernel
	.section	.text._ZN2at6native12cross_kernelIN3c107complexIdEE16OffsetCalculatorILi3EjLb0EEiEEviPT_PKS7_SA_T0_T1_SC_SC_,"axG",@progbits,_ZN2at6native12cross_kernelIN3c107complexIdEE16OffsetCalculatorILi3EjLb0EEiEEviPT_PKS7_SA_T0_T1_SC_SC_,comdat
.Lfunc_end15:
	.size	_ZN2at6native12cross_kernelIN3c107complexIdEE16OffsetCalculatorILi3EjLb0EEiEEviPT_PKS7_SA_T0_T1_SC_SC_, .Lfunc_end15-_ZN2at6native12cross_kernelIN3c107complexIdEE16OffsetCalculatorILi3EjLb0EEiEEviPT_PKS7_SA_T0_T1_SC_SC_
                                        ; -- End function
	.set _ZN2at6native12cross_kernelIN3c107complexIdEE16OffsetCalculatorILi3EjLb0EEiEEviPT_PKS7_SA_T0_T1_SC_SC_.num_vgpr, 40
	.set _ZN2at6native12cross_kernelIN3c107complexIdEE16OffsetCalculatorILi3EjLb0EEiEEviPT_PKS7_SA_T0_T1_SC_SC_.num_agpr, 0
	.set _ZN2at6native12cross_kernelIN3c107complexIdEE16OffsetCalculatorILi3EjLb0EEiEEviPT_PKS7_SA_T0_T1_SC_SC_.numbered_sgpr, 58
	.set _ZN2at6native12cross_kernelIN3c107complexIdEE16OffsetCalculatorILi3EjLb0EEiEEviPT_PKS7_SA_T0_T1_SC_SC_.num_named_barrier, 0
	.set _ZN2at6native12cross_kernelIN3c107complexIdEE16OffsetCalculatorILi3EjLb0EEiEEviPT_PKS7_SA_T0_T1_SC_SC_.private_seg_size, 0
	.set _ZN2at6native12cross_kernelIN3c107complexIdEE16OffsetCalculatorILi3EjLb0EEiEEviPT_PKS7_SA_T0_T1_SC_SC_.uses_vcc, 1
	.set _ZN2at6native12cross_kernelIN3c107complexIdEE16OffsetCalculatorILi3EjLb0EEiEEviPT_PKS7_SA_T0_T1_SC_SC_.uses_flat_scratch, 0
	.set _ZN2at6native12cross_kernelIN3c107complexIdEE16OffsetCalculatorILi3EjLb0EEiEEviPT_PKS7_SA_T0_T1_SC_SC_.has_dyn_sized_stack, 0
	.set _ZN2at6native12cross_kernelIN3c107complexIdEE16OffsetCalculatorILi3EjLb0EEiEEviPT_PKS7_SA_T0_T1_SC_SC_.has_recursion, 0
	.set _ZN2at6native12cross_kernelIN3c107complexIdEE16OffsetCalculatorILi3EjLb0EEiEEviPT_PKS7_SA_T0_T1_SC_SC_.has_indirect_call, 0
	.section	.AMDGPU.csdata,"",@progbits
; Kernel info:
; codeLenInByte = 1300
; TotalNumSgprs: 62
; NumVgprs: 40
; ScratchSize: 0
; MemoryBound: 0
; FloatMode: 240
; IeeeMode: 1
; LDSByteSize: 0 bytes/workgroup (compile time only)
; SGPRBlocks: 7
; VGPRBlocks: 9
; NumSGPRsForWavesPerEU: 62
; NumVGPRsForWavesPerEU: 40
; Occupancy: 6
; WaveLimiterHint : 1
; COMPUTE_PGM_RSRC2:SCRATCH_EN: 0
; COMPUTE_PGM_RSRC2:USER_SGPR: 6
; COMPUTE_PGM_RSRC2:TRAP_HANDLER: 0
; COMPUTE_PGM_RSRC2:TGID_X_EN: 1
; COMPUTE_PGM_RSRC2:TGID_Y_EN: 0
; COMPUTE_PGM_RSRC2:TGID_Z_EN: 0
; COMPUTE_PGM_RSRC2:TIDIG_COMP_CNT: 0
	.section	.text._ZN2at6native12cross_kernelIN3c107complexIfEE16OffsetCalculatorILi3EjLb0EElEEviPT_PKS7_SA_T0_T1_SC_SC_,"axG",@progbits,_ZN2at6native12cross_kernelIN3c107complexIfEE16OffsetCalculatorILi3EjLb0EElEEviPT_PKS7_SA_T0_T1_SC_SC_,comdat
	.protected	_ZN2at6native12cross_kernelIN3c107complexIfEE16OffsetCalculatorILi3EjLb0EElEEviPT_PKS7_SA_T0_T1_SC_SC_ ; -- Begin function _ZN2at6native12cross_kernelIN3c107complexIfEE16OffsetCalculatorILi3EjLb0EElEEviPT_PKS7_SA_T0_T1_SC_SC_
	.globl	_ZN2at6native12cross_kernelIN3c107complexIfEE16OffsetCalculatorILi3EjLb0EElEEviPT_PKS7_SA_T0_T1_SC_SC_
	.p2align	8
	.type	_ZN2at6native12cross_kernelIN3c107complexIfEE16OffsetCalculatorILi3EjLb0EElEEviPT_PKS7_SA_T0_T1_SC_SC_,@function
_ZN2at6native12cross_kernelIN3c107complexIfEE16OffsetCalculatorILi3EjLb0EElEEviPT_PKS7_SA_T0_T1_SC_SC_: ; @_ZN2at6native12cross_kernelIN3c107complexIfEE16OffsetCalculatorILi3EjLb0EElEEviPT_PKS7_SA_T0_T1_SC_SC_
; %bb.0:
	s_load_dword s24, s[4:5], 0x0
	s_load_dword s2, s[4:5], 0x1cc
	v_mov_b32_e32 v1, 0
	v_mov_b32_e32 v2, s6
	s_waitcnt lgkmcnt(0)
	s_ashr_i32 s25, s24, 31
	s_add_u32 s0, s4, 0x1c0
	s_addc_u32 s1, s5, 0
	s_and_b32 s2, s2, 0xffff
	v_mad_u64_u32 v[2:3], s[6:7], s2, v2, v[0:1]
	v_cmp_gt_i64_e32 vcc, s[24:25], v[2:3]
	s_and_saveexec_b64 s[6:7], vcc
	s_cbranch_execz .LBB16_13
; %bb.1:
	s_load_dwordx4 s[16:19], s[4:5], 0x8
	s_load_dwordx2 s[28:29], s[4:5], 0x18
	s_load_dwordx8 s[8:15], s[4:5], 0x20
	s_load_dwordx2 s[6:7], s[4:5], 0x1b8
	s_load_dwordx4 s[48:51], s[4:5], 0x1a8
	s_load_dword s3, s[0:1], 0x0
	s_add_u32 s26, s4, 8
	s_waitcnt lgkmcnt(0)
	v_sub_co_u32_e64 v0, s[0:1], s8, 1
	v_readfirstlane_b32 s15, v0
	s_addc_u32 s27, s5, 0
	s_xor_b64 s[0:1], s[0:1], -1
	s_min_u32 s33, s15, 15
	s_cmp_gt_u32 s8, 1
	s_cselect_b64 s[34:35], -1, 0
	s_mov_b32 s8, s13
	s_mul_i32 s13, s3, s2
	s_add_i32 s2, s33, 1
	s_load_dwordx4 s[20:23], s[4:5], 0xe4
	s_load_dwordx2 s[30:31], s[4:5], 0xf4
	s_lshl_b64 s[36:37], s[6:7], 4
	s_and_b32 s15, s2, 30
	s_bitcmp0_b32 s33, 0
	s_cselect_b64 s[2:3], -1, 0
	s_lshl_b64 s[38:39], s[50:51], 3
	s_lshl_b64 s[4:5], s[6:7], 3
	v_cmp_lt_u32_e32 vcc, 1, v0
	s_sub_u32 s33, 0, s4
	v_cndmask_b32_e64 v0, 0, 1, vcc
	v_cndmask_b32_e64 v4, 0, 1, s[0:1]
	v_cndmask_b32_e64 v5, 0, 1, s[2:3]
	s_mov_b64 s[40:41], 0
	s_subb_u32 s44, 0, s5
	s_lshl_b64 s[42:43], s[48:49], 3
	v_cmp_ne_u32_e64 s[0:1], 1, v0
	v_cmp_ne_u32_e64 s[2:3], 1, v4
	;; [unrolled: 1-line block ×3, first 2 shown]
	s_branch .LBB16_3
.LBB16_2:                               ;   in Loop: Header=BB16_3 Depth=1
	v_mov_b32_e32 v7, v1
	v_lshlrev_b64 v[5:6], 3, v[6:7]
	v_mov_b32_e32 v8, s19
	v_add_co_u32_e32 v7, vcc, s18, v5
	v_mov_b32_e32 v5, v1
	v_lshlrev_b64 v[4:5], 3, v[4:5]
	v_addc_co_u32_e32 v8, vcc, v8, v6, vcc
	v_mov_b32_e32 v6, s29
	v_add_co_u32_e32 v4, vcc, s28, v4
	v_addc_co_u32_e32 v5, vcc, v6, v5, vcc
	v_mov_b32_e32 v6, s39
	v_add_co_u32_e32 v9, vcc, s38, v7
	;; [unrolled: 3-line block ×3, first 2 shown]
	v_addc_co_u32_e32 v12, vcc, v5, v12, vcc
	global_load_dwordx2 v[13:14], v[9:10], off
	global_load_dwordx2 v[15:16], v[11:12], off
	;; [unrolled: 1-line block ×4, first 2 shown]
	v_add_co_u32_e32 v4, vcc, s38, v9
	v_addc_co_u32_e32 v5, vcc, v10, v6, vcc
	v_mov_b32_e32 v7, s44
	v_add_co_u32_e32 v6, vcc, s33, v11
	global_load_dwordx2 v[4:5], v[4:5], off
	v_addc_co_u32_e32 v7, vcc, v12, v7, vcc
	global_load_dwordx2 v[6:7], v[6:7], off
	s_waitcnt vmcnt(4)
	v_mul_f32_e32 v8, v16, v14
	s_waitcnt vmcnt(3)
	v_mul_f32_e32 v10, v16, v18
	v_mul_f32_e32 v9, v15, v14
	;; [unrolled: 1-line block ×3, first 2 shown]
	v_fma_f32 v8, v15, v13, -v8
	v_fma_f32 v10, v15, v17, -v10
	s_waitcnt vmcnt(2)
	v_mul_f32_e32 v12, v20, v14
	v_mul_f32_e32 v15, v20, v13
	v_fmac_f32_e32 v9, v16, v13
	v_fma_f32 v12, v19, v13, -v12
	v_fmac_f32_e32 v15, v19, v14
	s_waitcnt vmcnt(1)
	v_mul_f32_e32 v13, v20, v5
	v_mul_f32_e32 v14, v20, v4
	v_fmac_f32_e32 v11, v16, v17
	v_fma_f32 v13, v19, v4, -v13
	v_fmac_f32_e32 v14, v19, v5
	s_waitcnt vmcnt(0)
	v_mul_f32_e32 v16, v7, v5
	v_mul_f32_e32 v19, v6, v5
	v_fma_f32 v16, v6, v4, -v16
	v_fmac_f32_e32 v19, v7, v4
	v_mul_f32_e32 v4, v7, v18
	v_fma_f32 v20, v6, v17, -v4
	v_lshlrev_b64 v[4:5], 3, v[0:1]
	v_mov_b32_e32 v0, s17
	v_add_co_u32_e32 v4, vcc, s16, v4
	v_addc_co_u32_e32 v5, vcc, v0, v5, vcc
	v_add_co_u32_e32 v2, vcc, s13, v2
	v_mul_f32_e32 v18, v6, v18
	v_mov_b32_e32 v0, s43
	v_addc_co_u32_e32 v3, vcc, 0, v3, vcc
	v_sub_f32_e32 v6, v8, v16
	v_add_co_u32_e64 v8, s[6:7], s42, v4
	v_fmac_f32_e32 v18, v7, v17
	v_cmp_le_i64_e32 vcc, s[24:25], v[2:3]
	v_sub_f32_e32 v7, v9, v19
	v_addc_co_u32_e64 v9, s[6:7], v5, v0, s[6:7]
	v_sub_f32_e32 v10, v13, v10
	v_sub_f32_e32 v11, v14, v11
	global_store_dwordx2 v[4:5], v[6:7], off
	global_store_dwordx2 v[8:9], v[10:11], off
	v_add_co_u32_e64 v4, s[6:7], s42, v8
	v_sub_f32_e32 v12, v20, v12
	v_sub_f32_e32 v13, v18, v15
	v_addc_co_u32_e64 v5, s[6:7], v9, v0, s[6:7]
	s_or_b64 s[40:41], vcc, s[40:41]
	global_store_dwordx2 v[4:5], v[12:13], off
	s_andn2_b64 exec, exec, s[40:41]
	s_cbranch_execz .LBB16_13
.LBB16_3:                               ; =>This Loop Header: Depth=1
                                        ;     Child Loop BB16_6 Depth 2
	s_and_b64 vcc, exec, s[0:1]
	s_mov_b64 s[6:7], -1
                                        ; implicit-def: $vgpr6
                                        ; implicit-def: $vgpr4
	s_cbranch_vccnz .LBB16_10
; %bb.4:                                ;   in Loop: Header=BB16_3 Depth=1
	v_mov_b32_e32 v0, 0
	s_and_b64 vcc, exec, s[2:3]
	v_mov_b32_e32 v6, 0
	v_mov_b32_e32 v4, 0
	s_cbranch_vccnz .LBB16_9
; %bb.5:                                ;   in Loop: Header=BB16_3 Depth=1
	v_mov_b32_e32 v4, 0
	s_mov_b32 s45, s15
	s_mov_b64 s[6:7], s[26:27]
	v_mov_b32_e32 v6, 0
	v_mov_b32_e32 v0, v4
	;; [unrolled: 1-line block ×3, first 2 shown]
.LBB16_6:                               ;   Parent Loop BB16_3 Depth=1
                                        ; =>  This Inner Loop Header: Depth=2
	s_load_dwordx4 s[48:51], s[6:7], 0x1c
	s_load_dwordx2 s[46:47], s[6:7], 0x2c
	s_load_dwordx2 s[56:57], s[6:7], 0xec
	s_load_dwordx4 s[52:55], s[6:7], 0xdc
	s_add_u32 s6, s6, 24
	s_waitcnt lgkmcnt(0)
	v_mul_hi_u32 v7, s49, v5
	s_addc_u32 s7, s7, 0
	s_add_i32 s45, s45, -2
	s_cmp_lg_u32 s45, 0
	v_add_u32_e32 v7, v5, v7
	v_lshrrev_b32_e32 v7, s50, v7
	v_mul_lo_u32 v8, v7, s48
	v_mul_hi_u32 v9, s46, v7
	v_sub_u32_e32 v8, v5, v8
	v_add_u32_e32 v5, v7, v9
	v_lshrrev_b32_e32 v5, s47, v5
	v_mul_lo_u32 v11, v5, s51
	v_mul_lo_u32 v9, v8, s52
	;; [unrolled: 1-line block ×4, first 2 shown]
	v_sub_u32_e32 v7, v7, v11
	v_mul_lo_u32 v11, v7, s55
	v_mul_lo_u32 v12, v7, s56
	;; [unrolled: 1-line block ×3, first 2 shown]
	v_add3_u32 v0, v9, v0, v11
	v_add3_u32 v6, v10, v6, v12
	;; [unrolled: 1-line block ×3, first 2 shown]
	s_cbranch_scc1 .LBB16_6
; %bb.7:                                ;   in Loop: Header=BB16_3 Depth=1
	s_and_b64 vcc, exec, s[4:5]
	s_cbranch_vccnz .LBB16_9
; %bb.8:                                ;   in Loop: Header=BB16_3 Depth=1
	s_load_dwordx2 s[46:47], s[6:7], 0x1c
	s_load_dword s45, s[6:7], 0x24
	s_load_dwordx2 s[48:49], s[6:7], 0xdc
	s_waitcnt lgkmcnt(0)
	v_mul_hi_u32 v7, s47, v5
	v_add_u32_e32 v7, v5, v7
	v_lshrrev_b32_e32 v7, s45, v7
	v_mul_lo_u32 v7, v7, s46
	s_load_dword s45, s[6:7], 0xe4
	v_sub_u32_e32 v5, v5, v7
	v_mad_u64_u32 v[8:9], s[6:7], v5, s48, v[0:1]
	v_mad_u64_u32 v[6:7], s[6:7], v5, s49, v[6:7]
	s_waitcnt lgkmcnt(0)
	v_mad_u64_u32 v[4:5], s[6:7], v5, s45, v[4:5]
	v_mov_b32_e32 v0, v8
.LBB16_9:                               ;   in Loop: Header=BB16_3 Depth=1
	s_mov_b64 s[6:7], 0
.LBB16_10:                              ;   in Loop: Header=BB16_3 Depth=1
	s_andn2_b64 vcc, exec, s[6:7]
	s_cbranch_vccnz .LBB16_2
; %bb.11:                               ;   in Loop: Header=BB16_3 Depth=1
	v_mul_lo_u32 v0, v3, s10
	v_mul_hi_u32 v4, v2, s10
	s_andn2_b64 vcc, exec, s[34:35]
	v_add3_u32 v0, v4, v0, v2
	v_lshrrev_b32_e32 v5, s11, v0
	v_mul_lo_u32 v0, v5, s9
	v_sub_u32_e32 v4, v2, v0
	s_waitcnt lgkmcnt(0)
	v_mul_lo_u32 v0, v4, s20
	v_mul_lo_u32 v6, v4, s21
	;; [unrolled: 1-line block ×3, first 2 shown]
	s_cbranch_vccnz .LBB16_2
; %bb.12:                               ;   in Loop: Header=BB16_3 Depth=1
	v_mul_hi_u32 v7, s8, v5
	v_add_u32_e32 v7, v5, v7
	v_lshrrev_b32_e32 v7, s14, v7
	v_mul_lo_u32 v7, v7, s12
	v_sub_u32_e32 v5, v5, v7
	v_mad_u64_u32 v[8:9], s[6:7], v5, s23, v[0:1]
	v_mad_u64_u32 v[6:7], s[6:7], v5, s30, v[6:7]
	;; [unrolled: 1-line block ×3, first 2 shown]
	v_mov_b32_e32 v0, v8
	s_branch .LBB16_2
.LBB16_13:
	s_endpgm
	.section	.rodata,"a",@progbits
	.p2align	6, 0x0
	.amdhsa_kernel _ZN2at6native12cross_kernelIN3c107complexIfEE16OffsetCalculatorILi3EjLb0EElEEviPT_PKS7_SA_T0_T1_SC_SC_
		.amdhsa_group_segment_fixed_size 0
		.amdhsa_private_segment_fixed_size 0
		.amdhsa_kernarg_size 704
		.amdhsa_user_sgpr_count 6
		.amdhsa_user_sgpr_private_segment_buffer 1
		.amdhsa_user_sgpr_dispatch_ptr 0
		.amdhsa_user_sgpr_queue_ptr 0
		.amdhsa_user_sgpr_kernarg_segment_ptr 1
		.amdhsa_user_sgpr_dispatch_id 0
		.amdhsa_user_sgpr_flat_scratch_init 0
		.amdhsa_user_sgpr_private_segment_size 0
		.amdhsa_uses_dynamic_stack 0
		.amdhsa_system_sgpr_private_segment_wavefront_offset 0
		.amdhsa_system_sgpr_workgroup_id_x 1
		.amdhsa_system_sgpr_workgroup_id_y 0
		.amdhsa_system_sgpr_workgroup_id_z 0
		.amdhsa_system_sgpr_workgroup_info 0
		.amdhsa_system_vgpr_workitem_id 0
		.amdhsa_next_free_vgpr 21
		.amdhsa_next_free_sgpr 58
		.amdhsa_reserve_vcc 1
		.amdhsa_reserve_flat_scratch 0
		.amdhsa_float_round_mode_32 0
		.amdhsa_float_round_mode_16_64 0
		.amdhsa_float_denorm_mode_32 3
		.amdhsa_float_denorm_mode_16_64 3
		.amdhsa_dx10_clamp 1
		.amdhsa_ieee_mode 1
		.amdhsa_fp16_overflow 0
		.amdhsa_exception_fp_ieee_invalid_op 0
		.amdhsa_exception_fp_denorm_src 0
		.amdhsa_exception_fp_ieee_div_zero 0
		.amdhsa_exception_fp_ieee_overflow 0
		.amdhsa_exception_fp_ieee_underflow 0
		.amdhsa_exception_fp_ieee_inexact 0
		.amdhsa_exception_int_div_zero 0
	.end_amdhsa_kernel
	.section	.text._ZN2at6native12cross_kernelIN3c107complexIfEE16OffsetCalculatorILi3EjLb0EElEEviPT_PKS7_SA_T0_T1_SC_SC_,"axG",@progbits,_ZN2at6native12cross_kernelIN3c107complexIfEE16OffsetCalculatorILi3EjLb0EElEEviPT_PKS7_SA_T0_T1_SC_SC_,comdat
.Lfunc_end16:
	.size	_ZN2at6native12cross_kernelIN3c107complexIfEE16OffsetCalculatorILi3EjLb0EElEEviPT_PKS7_SA_T0_T1_SC_SC_, .Lfunc_end16-_ZN2at6native12cross_kernelIN3c107complexIfEE16OffsetCalculatorILi3EjLb0EElEEviPT_PKS7_SA_T0_T1_SC_SC_
                                        ; -- End function
	.set _ZN2at6native12cross_kernelIN3c107complexIfEE16OffsetCalculatorILi3EjLb0EElEEviPT_PKS7_SA_T0_T1_SC_SC_.num_vgpr, 21
	.set _ZN2at6native12cross_kernelIN3c107complexIfEE16OffsetCalculatorILi3EjLb0EElEEviPT_PKS7_SA_T0_T1_SC_SC_.num_agpr, 0
	.set _ZN2at6native12cross_kernelIN3c107complexIfEE16OffsetCalculatorILi3EjLb0EElEEviPT_PKS7_SA_T0_T1_SC_SC_.numbered_sgpr, 58
	.set _ZN2at6native12cross_kernelIN3c107complexIfEE16OffsetCalculatorILi3EjLb0EElEEviPT_PKS7_SA_T0_T1_SC_SC_.num_named_barrier, 0
	.set _ZN2at6native12cross_kernelIN3c107complexIfEE16OffsetCalculatorILi3EjLb0EElEEviPT_PKS7_SA_T0_T1_SC_SC_.private_seg_size, 0
	.set _ZN2at6native12cross_kernelIN3c107complexIfEE16OffsetCalculatorILi3EjLb0EElEEviPT_PKS7_SA_T0_T1_SC_SC_.uses_vcc, 1
	.set _ZN2at6native12cross_kernelIN3c107complexIfEE16OffsetCalculatorILi3EjLb0EElEEviPT_PKS7_SA_T0_T1_SC_SC_.uses_flat_scratch, 0
	.set _ZN2at6native12cross_kernelIN3c107complexIfEE16OffsetCalculatorILi3EjLb0EElEEviPT_PKS7_SA_T0_T1_SC_SC_.has_dyn_sized_stack, 0
	.set _ZN2at6native12cross_kernelIN3c107complexIfEE16OffsetCalculatorILi3EjLb0EElEEviPT_PKS7_SA_T0_T1_SC_SC_.has_recursion, 0
	.set _ZN2at6native12cross_kernelIN3c107complexIfEE16OffsetCalculatorILi3EjLb0EElEEviPT_PKS7_SA_T0_T1_SC_SC_.has_indirect_call, 0
	.section	.AMDGPU.csdata,"",@progbits
; Kernel info:
; codeLenInByte = 1188
; TotalNumSgprs: 62
; NumVgprs: 21
; ScratchSize: 0
; MemoryBound: 0
; FloatMode: 240
; IeeeMode: 1
; LDSByteSize: 0 bytes/workgroup (compile time only)
; SGPRBlocks: 7
; VGPRBlocks: 5
; NumSGPRsForWavesPerEU: 62
; NumVGPRsForWavesPerEU: 21
; Occupancy: 10
; WaveLimiterHint : 1
; COMPUTE_PGM_RSRC2:SCRATCH_EN: 0
; COMPUTE_PGM_RSRC2:USER_SGPR: 6
; COMPUTE_PGM_RSRC2:TRAP_HANDLER: 0
; COMPUTE_PGM_RSRC2:TGID_X_EN: 1
; COMPUTE_PGM_RSRC2:TGID_Y_EN: 0
; COMPUTE_PGM_RSRC2:TGID_Z_EN: 0
; COMPUTE_PGM_RSRC2:TIDIG_COMP_CNT: 0
	.section	.text._ZN2at6native12cross_kernelIN3c107complexIfEE16OffsetCalculatorILi3EjLb0EEiEEviPT_PKS7_SA_T0_T1_SC_SC_,"axG",@progbits,_ZN2at6native12cross_kernelIN3c107complexIfEE16OffsetCalculatorILi3EjLb0EEiEEviPT_PKS7_SA_T0_T1_SC_SC_,comdat
	.protected	_ZN2at6native12cross_kernelIN3c107complexIfEE16OffsetCalculatorILi3EjLb0EEiEEviPT_PKS7_SA_T0_T1_SC_SC_ ; -- Begin function _ZN2at6native12cross_kernelIN3c107complexIfEE16OffsetCalculatorILi3EjLb0EEiEEviPT_PKS7_SA_T0_T1_SC_SC_
	.globl	_ZN2at6native12cross_kernelIN3c107complexIfEE16OffsetCalculatorILi3EjLb0EEiEEviPT_PKS7_SA_T0_T1_SC_SC_
	.p2align	8
	.type	_ZN2at6native12cross_kernelIN3c107complexIfEE16OffsetCalculatorILi3EjLb0EEiEEviPT_PKS7_SA_T0_T1_SC_SC_,@function
_ZN2at6native12cross_kernelIN3c107complexIfEE16OffsetCalculatorILi3EjLb0EEiEEviPT_PKS7_SA_T0_T1_SC_SC_: ; @_ZN2at6native12cross_kernelIN3c107complexIfEE16OffsetCalculatorILi3EjLb0EEiEEviPT_PKS7_SA_T0_T1_SC_SC_
; %bb.0:
	s_load_dword s24, s[4:5], 0x0
	s_load_dword s2, s[4:5], 0x1bc
	v_mov_b32_e32 v1, 0
	v_mov_b32_e32 v2, s6
	s_waitcnt lgkmcnt(0)
	s_ashr_i32 s25, s24, 31
	s_add_u32 s0, s4, 0x1b0
	s_addc_u32 s1, s5, 0
	s_and_b32 s2, s2, 0xffff
	v_mad_u64_u32 v[2:3], s[6:7], s2, v2, v[0:1]
	v_cmp_gt_i64_e32 vcc, s[24:25], v[2:3]
	s_and_saveexec_b64 s[6:7], vcc
	s_cbranch_execz .LBB17_13
; %bb.1:
	s_load_dwordx8 s[8:15], s[4:5], 0x20
	s_load_dwordx4 s[16:19], s[4:5], 0x8
	s_load_dwordx2 s[28:29], s[4:5], 0x18
	s_load_dwordx4 s[40:43], s[4:5], 0x1a4
	s_load_dword s3, s[0:1], 0x0
	s_waitcnt lgkmcnt(0)
	v_sub_co_u32_e64 v0, s[0:1], s8, 1
	s_add_u32 s26, s4, 8
	v_readfirstlane_b32 s6, v0
	s_addc_u32 s27, s5, 0
	s_xor_b64 s[0:1], s[0:1], -1
	s_min_u32 s33, s6, 15
	s_cmp_gt_u32 s8, 1
	s_cselect_b64 s[34:35], -1, 0
	s_mov_b32 s8, s13
	s_lshl_b32 s6, s42, 1
	s_mul_i32 s13, s3, s2
	s_add_i32 s2, s33, 1
	s_load_dwordx4 s[20:23], s[4:5], 0xe4
	s_load_dwordx2 s[30:31], s[4:5], 0xf4
	s_ashr_i32 s5, s41, 31
	s_mov_b32 s4, s41
	s_ashr_i32 s7, s6, 31
	s_ashr_i32 s41, s40, 31
	s_and_b32 s15, s2, 30
	s_bitcmp0_b32 s33, 0
	s_cselect_b64 s[2:3], -1, 0
	s_ashr_i32 s43, s42, 31
	s_lshl_b64 s[36:37], s[4:5], 3
	s_lshl_b64 s[4:5], s[42:43], 3
	v_cmp_lt_u32_e32 vcc, 1, v0
	s_sub_u32 s33, 0, s4
	v_cndmask_b32_e64 v0, 0, 1, vcc
	v_cndmask_b32_e64 v4, 0, 1, s[0:1]
	v_cndmask_b32_e64 v5, 0, 1, s[2:3]
	s_mov_b64 s[38:39], 0
	s_subb_u32 s44, 0, s5
	s_lshl_b64 s[40:41], s[40:41], 3
	s_lshl_b64 s[42:43], s[6:7], 3
	v_cmp_ne_u32_e64 s[0:1], 1, v0
	v_cmp_ne_u32_e64 s[2:3], 1, v4
	;; [unrolled: 1-line block ×3, first 2 shown]
	s_branch .LBB17_3
.LBB17_2:                               ;   in Loop: Header=BB17_3 Depth=1
	v_mov_b32_e32 v7, v1
	v_lshlrev_b64 v[5:6], 3, v[6:7]
	v_mov_b32_e32 v8, s19
	v_add_co_u32_e32 v7, vcc, s18, v5
	v_mov_b32_e32 v5, v1
	v_lshlrev_b64 v[4:5], 3, v[4:5]
	v_addc_co_u32_e32 v8, vcc, v8, v6, vcc
	v_mov_b32_e32 v6, s29
	v_add_co_u32_e32 v4, vcc, s28, v4
	v_addc_co_u32_e32 v5, vcc, v6, v5, vcc
	v_mov_b32_e32 v6, s37
	v_add_co_u32_e32 v9, vcc, s36, v7
	;; [unrolled: 3-line block ×3, first 2 shown]
	v_addc_co_u32_e32 v12, vcc, v5, v12, vcc
	global_load_dwordx2 v[13:14], v[9:10], off
	global_load_dwordx2 v[15:16], v[11:12], off
	;; [unrolled: 1-line block ×4, first 2 shown]
	v_add_co_u32_e32 v4, vcc, s36, v9
	v_addc_co_u32_e32 v5, vcc, v10, v6, vcc
	v_mov_b32_e32 v7, s44
	v_add_co_u32_e32 v6, vcc, s33, v11
	global_load_dwordx2 v[4:5], v[4:5], off
	v_addc_co_u32_e32 v7, vcc, v12, v7, vcc
	global_load_dwordx2 v[6:7], v[6:7], off
	s_waitcnt vmcnt(4)
	v_mul_f32_e32 v8, v16, v14
	s_waitcnt vmcnt(3)
	v_mul_f32_e32 v10, v16, v18
	v_mul_f32_e32 v9, v15, v14
	;; [unrolled: 1-line block ×3, first 2 shown]
	v_fma_f32 v8, v15, v13, -v8
	v_fma_f32 v10, v15, v17, -v10
	s_waitcnt vmcnt(2)
	v_mul_f32_e32 v12, v20, v14
	v_mul_f32_e32 v15, v20, v13
	v_fmac_f32_e32 v9, v16, v13
	v_fma_f32 v12, v19, v13, -v12
	v_fmac_f32_e32 v15, v19, v14
	s_waitcnt vmcnt(1)
	v_mul_f32_e32 v13, v20, v5
	v_mul_f32_e32 v14, v20, v4
	v_fmac_f32_e32 v11, v16, v17
	v_fma_f32 v13, v19, v4, -v13
	v_fmac_f32_e32 v14, v19, v5
	s_waitcnt vmcnt(0)
	v_mul_f32_e32 v16, v7, v5
	v_mul_f32_e32 v19, v6, v5
	v_fma_f32 v16, v6, v4, -v16
	v_fmac_f32_e32 v19, v7, v4
	v_mul_f32_e32 v4, v7, v18
	v_fma_f32 v20, v6, v17, -v4
	v_lshlrev_b64 v[4:5], 3, v[0:1]
	v_mov_b32_e32 v0, s17
	v_add_co_u32_e32 v4, vcc, s16, v4
	v_addc_co_u32_e32 v5, vcc, v0, v5, vcc
	v_add_co_u32_e32 v2, vcc, s13, v2
	v_mul_f32_e32 v18, v6, v18
	v_mov_b32_e32 v0, s41
	v_addc_co_u32_e32 v3, vcc, 0, v3, vcc
	v_sub_f32_e32 v6, v8, v16
	v_add_co_u32_e64 v8, s[6:7], s40, v4
	v_fmac_f32_e32 v18, v7, v17
	v_cmp_le_i64_e32 vcc, s[24:25], v[2:3]
	v_sub_f32_e32 v7, v9, v19
	v_addc_co_u32_e64 v9, s[6:7], v5, v0, s[6:7]
	v_sub_f32_e32 v10, v13, v10
	v_sub_f32_e32 v11, v14, v11
	global_store_dwordx2 v[4:5], v[6:7], off
	global_store_dwordx2 v[8:9], v[10:11], off
	v_add_co_u32_e64 v4, s[6:7], s40, v8
	v_sub_f32_e32 v12, v20, v12
	v_sub_f32_e32 v13, v18, v15
	v_addc_co_u32_e64 v5, s[6:7], v9, v0, s[6:7]
	s_or_b64 s[38:39], vcc, s[38:39]
	global_store_dwordx2 v[4:5], v[12:13], off
	s_andn2_b64 exec, exec, s[38:39]
	s_cbranch_execz .LBB17_13
.LBB17_3:                               ; =>This Loop Header: Depth=1
                                        ;     Child Loop BB17_6 Depth 2
	s_and_b64 vcc, exec, s[0:1]
	s_mov_b64 s[6:7], -1
                                        ; implicit-def: $vgpr6
                                        ; implicit-def: $vgpr4
	s_cbranch_vccnz .LBB17_10
; %bb.4:                                ;   in Loop: Header=BB17_3 Depth=1
	v_mov_b32_e32 v0, 0
	s_and_b64 vcc, exec, s[2:3]
	v_mov_b32_e32 v6, 0
	v_mov_b32_e32 v4, 0
	s_cbranch_vccnz .LBB17_9
; %bb.5:                                ;   in Loop: Header=BB17_3 Depth=1
	v_mov_b32_e32 v4, 0
	s_mov_b32 s45, s15
	s_mov_b64 s[6:7], s[26:27]
	v_mov_b32_e32 v6, 0
	v_mov_b32_e32 v0, v4
	;; [unrolled: 1-line block ×3, first 2 shown]
.LBB17_6:                               ;   Parent Loop BB17_3 Depth=1
                                        ; =>  This Inner Loop Header: Depth=2
	s_load_dwordx4 s[48:51], s[6:7], 0x1c
	s_load_dwordx2 s[46:47], s[6:7], 0x2c
	s_load_dwordx2 s[56:57], s[6:7], 0xec
	s_load_dwordx4 s[52:55], s[6:7], 0xdc
	s_add_u32 s6, s6, 24
	s_waitcnt lgkmcnt(0)
	v_mul_hi_u32 v7, s49, v5
	s_addc_u32 s7, s7, 0
	s_add_i32 s45, s45, -2
	s_cmp_lg_u32 s45, 0
	v_add_u32_e32 v7, v5, v7
	v_lshrrev_b32_e32 v7, s50, v7
	v_mul_lo_u32 v8, v7, s48
	v_mul_hi_u32 v9, s46, v7
	v_sub_u32_e32 v8, v5, v8
	v_add_u32_e32 v5, v7, v9
	v_lshrrev_b32_e32 v5, s47, v5
	v_mul_lo_u32 v11, v5, s51
	v_mul_lo_u32 v9, v8, s52
	;; [unrolled: 1-line block ×4, first 2 shown]
	v_sub_u32_e32 v7, v7, v11
	v_mul_lo_u32 v11, v7, s55
	v_mul_lo_u32 v12, v7, s56
	;; [unrolled: 1-line block ×3, first 2 shown]
	v_add3_u32 v0, v9, v0, v11
	v_add3_u32 v6, v10, v6, v12
	;; [unrolled: 1-line block ×3, first 2 shown]
	s_cbranch_scc1 .LBB17_6
; %bb.7:                                ;   in Loop: Header=BB17_3 Depth=1
	s_and_b64 vcc, exec, s[4:5]
	s_cbranch_vccnz .LBB17_9
; %bb.8:                                ;   in Loop: Header=BB17_3 Depth=1
	s_load_dwordx2 s[46:47], s[6:7], 0x1c
	s_load_dword s45, s[6:7], 0x24
	s_load_dwordx2 s[48:49], s[6:7], 0xdc
	s_waitcnt lgkmcnt(0)
	v_mul_hi_u32 v7, s47, v5
	v_add_u32_e32 v7, v5, v7
	v_lshrrev_b32_e32 v7, s45, v7
	v_mul_lo_u32 v7, v7, s46
	s_load_dword s45, s[6:7], 0xe4
	v_sub_u32_e32 v5, v5, v7
	v_mad_u64_u32 v[8:9], s[6:7], v5, s48, v[0:1]
	v_mad_u64_u32 v[6:7], s[6:7], v5, s49, v[6:7]
	s_waitcnt lgkmcnt(0)
	v_mad_u64_u32 v[4:5], s[6:7], v5, s45, v[4:5]
	v_mov_b32_e32 v0, v8
.LBB17_9:                               ;   in Loop: Header=BB17_3 Depth=1
	s_mov_b64 s[6:7], 0
.LBB17_10:                              ;   in Loop: Header=BB17_3 Depth=1
	s_andn2_b64 vcc, exec, s[6:7]
	s_cbranch_vccnz .LBB17_2
; %bb.11:                               ;   in Loop: Header=BB17_3 Depth=1
	v_mul_lo_u32 v0, v3, s10
	v_mul_hi_u32 v4, v2, s10
	s_andn2_b64 vcc, exec, s[34:35]
	v_add3_u32 v0, v4, v0, v2
	v_lshrrev_b32_e32 v5, s11, v0
	v_mul_lo_u32 v0, v5, s9
	v_sub_u32_e32 v4, v2, v0
	s_waitcnt lgkmcnt(0)
	v_mul_lo_u32 v0, v4, s20
	v_mul_lo_u32 v6, v4, s21
	;; [unrolled: 1-line block ×3, first 2 shown]
	s_cbranch_vccnz .LBB17_2
; %bb.12:                               ;   in Loop: Header=BB17_3 Depth=1
	v_mul_hi_u32 v7, s8, v5
	v_add_u32_e32 v7, v5, v7
	v_lshrrev_b32_e32 v7, s14, v7
	v_mul_lo_u32 v7, v7, s12
	v_sub_u32_e32 v5, v5, v7
	v_mad_u64_u32 v[8:9], s[6:7], v5, s23, v[0:1]
	v_mad_u64_u32 v[6:7], s[6:7], v5, s30, v[6:7]
	;; [unrolled: 1-line block ×3, first 2 shown]
	v_mov_b32_e32 v0, v8
	s_branch .LBB17_2
.LBB17_13:
	s_endpgm
	.section	.rodata,"a",@progbits
	.p2align	6, 0x0
	.amdhsa_kernel _ZN2at6native12cross_kernelIN3c107complexIfEE16OffsetCalculatorILi3EjLb0EEiEEviPT_PKS7_SA_T0_T1_SC_SC_
		.amdhsa_group_segment_fixed_size 0
		.amdhsa_private_segment_fixed_size 0
		.amdhsa_kernarg_size 688
		.amdhsa_user_sgpr_count 6
		.amdhsa_user_sgpr_private_segment_buffer 1
		.amdhsa_user_sgpr_dispatch_ptr 0
		.amdhsa_user_sgpr_queue_ptr 0
		.amdhsa_user_sgpr_kernarg_segment_ptr 1
		.amdhsa_user_sgpr_dispatch_id 0
		.amdhsa_user_sgpr_flat_scratch_init 0
		.amdhsa_user_sgpr_private_segment_size 0
		.amdhsa_uses_dynamic_stack 0
		.amdhsa_system_sgpr_private_segment_wavefront_offset 0
		.amdhsa_system_sgpr_workgroup_id_x 1
		.amdhsa_system_sgpr_workgroup_id_y 0
		.amdhsa_system_sgpr_workgroup_id_z 0
		.amdhsa_system_sgpr_workgroup_info 0
		.amdhsa_system_vgpr_workitem_id 0
		.amdhsa_next_free_vgpr 21
		.amdhsa_next_free_sgpr 58
		.amdhsa_reserve_vcc 1
		.amdhsa_reserve_flat_scratch 0
		.amdhsa_float_round_mode_32 0
		.amdhsa_float_round_mode_16_64 0
		.amdhsa_float_denorm_mode_32 3
		.amdhsa_float_denorm_mode_16_64 3
		.amdhsa_dx10_clamp 1
		.amdhsa_ieee_mode 1
		.amdhsa_fp16_overflow 0
		.amdhsa_exception_fp_ieee_invalid_op 0
		.amdhsa_exception_fp_denorm_src 0
		.amdhsa_exception_fp_ieee_div_zero 0
		.amdhsa_exception_fp_ieee_overflow 0
		.amdhsa_exception_fp_ieee_underflow 0
		.amdhsa_exception_fp_ieee_inexact 0
		.amdhsa_exception_int_div_zero 0
	.end_amdhsa_kernel
	.section	.text._ZN2at6native12cross_kernelIN3c107complexIfEE16OffsetCalculatorILi3EjLb0EEiEEviPT_PKS7_SA_T0_T1_SC_SC_,"axG",@progbits,_ZN2at6native12cross_kernelIN3c107complexIfEE16OffsetCalculatorILi3EjLb0EEiEEviPT_PKS7_SA_T0_T1_SC_SC_,comdat
.Lfunc_end17:
	.size	_ZN2at6native12cross_kernelIN3c107complexIfEE16OffsetCalculatorILi3EjLb0EEiEEviPT_PKS7_SA_T0_T1_SC_SC_, .Lfunc_end17-_ZN2at6native12cross_kernelIN3c107complexIfEE16OffsetCalculatorILi3EjLb0EEiEEviPT_PKS7_SA_T0_T1_SC_SC_
                                        ; -- End function
	.set _ZN2at6native12cross_kernelIN3c107complexIfEE16OffsetCalculatorILi3EjLb0EEiEEviPT_PKS7_SA_T0_T1_SC_SC_.num_vgpr, 21
	.set _ZN2at6native12cross_kernelIN3c107complexIfEE16OffsetCalculatorILi3EjLb0EEiEEviPT_PKS7_SA_T0_T1_SC_SC_.num_agpr, 0
	.set _ZN2at6native12cross_kernelIN3c107complexIfEE16OffsetCalculatorILi3EjLb0EEiEEviPT_PKS7_SA_T0_T1_SC_SC_.numbered_sgpr, 58
	.set _ZN2at6native12cross_kernelIN3c107complexIfEE16OffsetCalculatorILi3EjLb0EEiEEviPT_PKS7_SA_T0_T1_SC_SC_.num_named_barrier, 0
	.set _ZN2at6native12cross_kernelIN3c107complexIfEE16OffsetCalculatorILi3EjLb0EEiEEviPT_PKS7_SA_T0_T1_SC_SC_.private_seg_size, 0
	.set _ZN2at6native12cross_kernelIN3c107complexIfEE16OffsetCalculatorILi3EjLb0EEiEEviPT_PKS7_SA_T0_T1_SC_SC_.uses_vcc, 1
	.set _ZN2at6native12cross_kernelIN3c107complexIfEE16OffsetCalculatorILi3EjLb0EEiEEviPT_PKS7_SA_T0_T1_SC_SC_.uses_flat_scratch, 0
	.set _ZN2at6native12cross_kernelIN3c107complexIfEE16OffsetCalculatorILi3EjLb0EEiEEviPT_PKS7_SA_T0_T1_SC_SC_.has_dyn_sized_stack, 0
	.set _ZN2at6native12cross_kernelIN3c107complexIfEE16OffsetCalculatorILi3EjLb0EEiEEviPT_PKS7_SA_T0_T1_SC_SC_.has_recursion, 0
	.set _ZN2at6native12cross_kernelIN3c107complexIfEE16OffsetCalculatorILi3EjLb0EEiEEviPT_PKS7_SA_T0_T1_SC_SC_.has_indirect_call, 0
	.section	.AMDGPU.csdata,"",@progbits
; Kernel info:
; codeLenInByte = 1204
; TotalNumSgprs: 62
; NumVgprs: 21
; ScratchSize: 0
; MemoryBound: 0
; FloatMode: 240
; IeeeMode: 1
; LDSByteSize: 0 bytes/workgroup (compile time only)
; SGPRBlocks: 7
; VGPRBlocks: 5
; NumSGPRsForWavesPerEU: 62
; NumVGPRsForWavesPerEU: 21
; Occupancy: 10
; WaveLimiterHint : 1
; COMPUTE_PGM_RSRC2:SCRATCH_EN: 0
; COMPUTE_PGM_RSRC2:USER_SGPR: 6
; COMPUTE_PGM_RSRC2:TRAP_HANDLER: 0
; COMPUTE_PGM_RSRC2:TGID_X_EN: 1
; COMPUTE_PGM_RSRC2:TGID_Y_EN: 0
; COMPUTE_PGM_RSRC2:TGID_Z_EN: 0
; COMPUTE_PGM_RSRC2:TIDIG_COMP_CNT: 0
	.section	.text._ZN2at6native12cross_kernelIN3c104HalfE16OffsetCalculatorILi3EjLb0EElEEviPT_PKS6_S9_T0_T1_SB_SB_,"axG",@progbits,_ZN2at6native12cross_kernelIN3c104HalfE16OffsetCalculatorILi3EjLb0EElEEviPT_PKS6_S9_T0_T1_SB_SB_,comdat
	.protected	_ZN2at6native12cross_kernelIN3c104HalfE16OffsetCalculatorILi3EjLb0EElEEviPT_PKS6_S9_T0_T1_SB_SB_ ; -- Begin function _ZN2at6native12cross_kernelIN3c104HalfE16OffsetCalculatorILi3EjLb0EElEEviPT_PKS6_S9_T0_T1_SB_SB_
	.globl	_ZN2at6native12cross_kernelIN3c104HalfE16OffsetCalculatorILi3EjLb0EElEEviPT_PKS6_S9_T0_T1_SB_SB_
	.p2align	8
	.type	_ZN2at6native12cross_kernelIN3c104HalfE16OffsetCalculatorILi3EjLb0EElEEviPT_PKS6_S9_T0_T1_SB_SB_,@function
_ZN2at6native12cross_kernelIN3c104HalfE16OffsetCalculatorILi3EjLb0EElEEviPT_PKS6_S9_T0_T1_SB_SB_: ; @_ZN2at6native12cross_kernelIN3c104HalfE16OffsetCalculatorILi3EjLb0EElEEviPT_PKS6_S9_T0_T1_SB_SB_
; %bb.0:
	s_load_dword s24, s[4:5], 0x0
	s_load_dword s2, s[4:5], 0x1cc
	v_mov_b32_e32 v1, 0
	v_mov_b32_e32 v2, s6
	s_waitcnt lgkmcnt(0)
	s_ashr_i32 s25, s24, 31
	s_add_u32 s0, s4, 0x1c0
	s_addc_u32 s1, s5, 0
	s_and_b32 s2, s2, 0xffff
	v_mad_u64_u32 v[2:3], s[6:7], s2, v2, v[0:1]
	v_cmp_gt_i64_e32 vcc, s[24:25], v[2:3]
	s_and_saveexec_b64 s[6:7], vcc
	s_cbranch_execz .LBB18_13
; %bb.1:
	s_load_dwordx4 s[16:19], s[4:5], 0x8
	s_load_dwordx2 s[28:29], s[4:5], 0x18
	s_load_dwordx8 s[8:15], s[4:5], 0x20
	s_load_dwordx2 s[6:7], s[4:5], 0x1b8
	s_load_dwordx4 s[48:51], s[4:5], 0x1a8
	s_load_dword s3, s[0:1], 0x0
	s_add_u32 s26, s4, 8
	s_waitcnt lgkmcnt(0)
	v_sub_co_u32_e64 v0, s[0:1], s8, 1
	v_readfirstlane_b32 s15, v0
	s_addc_u32 s27, s5, 0
	s_xor_b64 s[0:1], s[0:1], -1
	s_min_u32 s33, s15, 15
	s_cmp_gt_u32 s8, 1
	s_cselect_b64 s[34:35], -1, 0
	s_mov_b32 s8, s13
	s_mul_i32 s13, s3, s2
	s_add_i32 s2, s33, 1
	s_load_dwordx4 s[20:23], s[4:5], 0xe4
	s_load_dwordx2 s[30:31], s[4:5], 0xf4
	s_lshl_b64 s[36:37], s[6:7], 2
	s_and_b32 s15, s2, 30
	s_bitcmp0_b32 s33, 0
	s_cselect_b64 s[2:3], -1, 0
	s_lshl_b64 s[38:39], s[50:51], 1
	s_lshl_b64 s[4:5], s[6:7], 1
	v_cmp_lt_u32_e32 vcc, 1, v0
	s_sub_u32 s33, 0, s4
	v_cndmask_b32_e64 v0, 0, 1, vcc
	v_cndmask_b32_e64 v4, 0, 1, s[0:1]
	v_cndmask_b32_e64 v5, 0, 1, s[2:3]
	s_mov_b64 s[40:41], 0
	s_subb_u32 s44, 0, s5
	s_lshl_b64 s[42:43], s[48:49], 1
	v_cmp_ne_u32_e64 s[0:1], 1, v0
	v_cmp_ne_u32_e64 s[2:3], 1, v4
	;; [unrolled: 1-line block ×3, first 2 shown]
	s_branch .LBB18_3
.LBB18_2:                               ;   in Loop: Header=BB18_3 Depth=1
	v_mov_b32_e32 v7, v1
	v_lshlrev_b64 v[5:6], 1, v[6:7]
	v_mov_b32_e32 v8, s19
	v_add_co_u32_e32 v7, vcc, s18, v5
	v_mov_b32_e32 v5, v1
	v_lshlrev_b64 v[4:5], 1, v[4:5]
	v_addc_co_u32_e32 v8, vcc, v8, v6, vcc
	v_mov_b32_e32 v6, s29
	v_add_co_u32_e32 v4, vcc, s28, v4
	v_addc_co_u32_e32 v5, vcc, v6, v5, vcc
	v_mov_b32_e32 v6, s39
	v_add_co_u32_e32 v9, vcc, s38, v7
	;; [unrolled: 3-line block ×3, first 2 shown]
	v_addc_co_u32_e32 v12, vcc, v5, v12, vcc
	global_load_ushort v13, v[9:10], off
	global_load_ushort v14, v[11:12], off
	v_add_co_u32_e32 v9, vcc, s38, v9
	v_addc_co_u32_e32 v10, vcc, v10, v6, vcc
	v_mov_b32_e32 v6, s44
	v_add_co_u32_e32 v11, vcc, s33, v11
	v_addc_co_u32_e32 v12, vcc, v12, v6, vcc
	global_load_ushort v15, v[9:10], off
	global_load_ushort v16, v[7:8], off
	;; [unrolled: 1-line block ×4, first 2 shown]
	v_lshlrev_b64 v[4:5], 1, v[0:1]
	v_add_co_u32_e32 v2, vcc, s13, v2
	v_mov_b32_e32 v0, s17
	v_addc_co_u32_e32 v3, vcc, 0, v3, vcc
	v_add_co_u32_e64 v4, s[6:7], s16, v4
	v_cmp_le_i64_e32 vcc, s[24:25], v[2:3]
	v_addc_co_u32_e64 v5, s[6:7], v0, v5, s[6:7]
	v_mov_b32_e32 v9, s43
	v_add_co_u32_e64 v6, s[6:7], s42, v4
	v_addc_co_u32_e64 v7, s[6:7], v5, v9, s[6:7]
	s_or_b64 s[40:41], vcc, s[40:41]
	v_add_co_u32_e32 v8, vcc, s42, v6
	v_addc_co_u32_e32 v9, vcc, v7, v9, vcc
	s_waitcnt vmcnt(2)
	v_mul_f16_e32 v0, v14, v16
	s_waitcnt vmcnt(1)
	v_mul_f16_e32 v10, v13, v17
	;; [unrolled: 2-line block ×3, first 2 shown]
	v_fma_f16 v11, v13, v14, -v11
	v_fma_f16 v0, v15, v17, -v0
	;; [unrolled: 1-line block ×3, first 2 shown]
	global_store_short v[4:5], v11, off
	global_store_short v[6:7], v0, off
	;; [unrolled: 1-line block ×3, first 2 shown]
	s_andn2_b64 exec, exec, s[40:41]
	s_cbranch_execz .LBB18_13
.LBB18_3:                               ; =>This Loop Header: Depth=1
                                        ;     Child Loop BB18_6 Depth 2
	s_and_b64 vcc, exec, s[0:1]
	s_mov_b64 s[6:7], -1
                                        ; implicit-def: $vgpr6
                                        ; implicit-def: $vgpr4
	s_cbranch_vccnz .LBB18_10
; %bb.4:                                ;   in Loop: Header=BB18_3 Depth=1
	v_mov_b32_e32 v0, 0
	s_and_b64 vcc, exec, s[2:3]
	v_mov_b32_e32 v6, 0
	v_mov_b32_e32 v4, 0
	s_cbranch_vccnz .LBB18_9
; %bb.5:                                ;   in Loop: Header=BB18_3 Depth=1
	v_mov_b32_e32 v4, 0
	s_mov_b32 s45, s15
	s_mov_b64 s[6:7], s[26:27]
	v_mov_b32_e32 v6, 0
	v_mov_b32_e32 v0, v4
	v_mov_b32_e32 v5, v2
.LBB18_6:                               ;   Parent Loop BB18_3 Depth=1
                                        ; =>  This Inner Loop Header: Depth=2
	s_load_dwordx4 s[48:51], s[6:7], 0x1c
	s_load_dwordx2 s[46:47], s[6:7], 0x2c
	s_load_dwordx2 s[56:57], s[6:7], 0xec
	s_load_dwordx4 s[52:55], s[6:7], 0xdc
	s_add_u32 s6, s6, 24
	s_waitcnt lgkmcnt(0)
	v_mul_hi_u32 v7, s49, v5
	s_addc_u32 s7, s7, 0
	s_add_i32 s45, s45, -2
	s_cmp_lg_u32 s45, 0
	v_add_u32_e32 v7, v5, v7
	v_lshrrev_b32_e32 v7, s50, v7
	v_mul_lo_u32 v8, v7, s48
	v_mul_hi_u32 v9, s46, v7
	v_sub_u32_e32 v8, v5, v8
	v_add_u32_e32 v5, v7, v9
	v_lshrrev_b32_e32 v5, s47, v5
	v_mul_lo_u32 v11, v5, s51
	v_mul_lo_u32 v9, v8, s52
	;; [unrolled: 1-line block ×4, first 2 shown]
	v_sub_u32_e32 v7, v7, v11
	v_mul_lo_u32 v11, v7, s55
	v_mul_lo_u32 v12, v7, s56
	;; [unrolled: 1-line block ×3, first 2 shown]
	v_add3_u32 v0, v9, v0, v11
	v_add3_u32 v6, v10, v6, v12
	;; [unrolled: 1-line block ×3, first 2 shown]
	s_cbranch_scc1 .LBB18_6
; %bb.7:                                ;   in Loop: Header=BB18_3 Depth=1
	s_and_b64 vcc, exec, s[4:5]
	s_cbranch_vccnz .LBB18_9
; %bb.8:                                ;   in Loop: Header=BB18_3 Depth=1
	s_load_dwordx2 s[46:47], s[6:7], 0x1c
	s_load_dword s45, s[6:7], 0x24
	s_load_dwordx2 s[48:49], s[6:7], 0xdc
	s_waitcnt lgkmcnt(0)
	v_mul_hi_u32 v7, s47, v5
	v_add_u32_e32 v7, v5, v7
	v_lshrrev_b32_e32 v7, s45, v7
	v_mul_lo_u32 v7, v7, s46
	s_load_dword s45, s[6:7], 0xe4
	v_sub_u32_e32 v5, v5, v7
	v_mad_u64_u32 v[8:9], s[6:7], v5, s48, v[0:1]
	v_mad_u64_u32 v[6:7], s[6:7], v5, s49, v[6:7]
	s_waitcnt lgkmcnt(0)
	v_mad_u64_u32 v[4:5], s[6:7], v5, s45, v[4:5]
	v_mov_b32_e32 v0, v8
.LBB18_9:                               ;   in Loop: Header=BB18_3 Depth=1
	s_mov_b64 s[6:7], 0
.LBB18_10:                              ;   in Loop: Header=BB18_3 Depth=1
	s_andn2_b64 vcc, exec, s[6:7]
	s_cbranch_vccnz .LBB18_2
; %bb.11:                               ;   in Loop: Header=BB18_3 Depth=1
	v_mul_lo_u32 v0, v3, s10
	v_mul_hi_u32 v4, v2, s10
	s_andn2_b64 vcc, exec, s[34:35]
	v_add3_u32 v0, v4, v0, v2
	v_lshrrev_b32_e32 v5, s11, v0
	v_mul_lo_u32 v0, v5, s9
	v_sub_u32_e32 v4, v2, v0
	s_waitcnt lgkmcnt(0)
	v_mul_lo_u32 v0, v4, s20
	v_mul_lo_u32 v6, v4, s21
	;; [unrolled: 1-line block ×3, first 2 shown]
	s_cbranch_vccnz .LBB18_2
; %bb.12:                               ;   in Loop: Header=BB18_3 Depth=1
	v_mul_hi_u32 v7, s8, v5
	v_add_u32_e32 v7, v5, v7
	v_lshrrev_b32_e32 v7, s14, v7
	v_mul_lo_u32 v7, v7, s12
	v_sub_u32_e32 v5, v5, v7
	v_mad_u64_u32 v[8:9], s[6:7], v5, s23, v[0:1]
	v_mad_u64_u32 v[6:7], s[6:7], v5, s30, v[6:7]
	;; [unrolled: 1-line block ×3, first 2 shown]
	v_mov_b32_e32 v0, v8
	s_branch .LBB18_2
.LBB18_13:
	s_endpgm
	.section	.rodata,"a",@progbits
	.p2align	6, 0x0
	.amdhsa_kernel _ZN2at6native12cross_kernelIN3c104HalfE16OffsetCalculatorILi3EjLb0EElEEviPT_PKS6_S9_T0_T1_SB_SB_
		.amdhsa_group_segment_fixed_size 0
		.amdhsa_private_segment_fixed_size 0
		.amdhsa_kernarg_size 704
		.amdhsa_user_sgpr_count 6
		.amdhsa_user_sgpr_private_segment_buffer 1
		.amdhsa_user_sgpr_dispatch_ptr 0
		.amdhsa_user_sgpr_queue_ptr 0
		.amdhsa_user_sgpr_kernarg_segment_ptr 1
		.amdhsa_user_sgpr_dispatch_id 0
		.amdhsa_user_sgpr_flat_scratch_init 0
		.amdhsa_user_sgpr_private_segment_size 0
		.amdhsa_uses_dynamic_stack 0
		.amdhsa_system_sgpr_private_segment_wavefront_offset 0
		.amdhsa_system_sgpr_workgroup_id_x 1
		.amdhsa_system_sgpr_workgroup_id_y 0
		.amdhsa_system_sgpr_workgroup_id_z 0
		.amdhsa_system_sgpr_workgroup_info 0
		.amdhsa_system_vgpr_workitem_id 0
		.amdhsa_next_free_vgpr 19
		.amdhsa_next_free_sgpr 58
		.amdhsa_reserve_vcc 1
		.amdhsa_reserve_flat_scratch 0
		.amdhsa_float_round_mode_32 0
		.amdhsa_float_round_mode_16_64 0
		.amdhsa_float_denorm_mode_32 3
		.amdhsa_float_denorm_mode_16_64 3
		.amdhsa_dx10_clamp 1
		.amdhsa_ieee_mode 1
		.amdhsa_fp16_overflow 0
		.amdhsa_exception_fp_ieee_invalid_op 0
		.amdhsa_exception_fp_denorm_src 0
		.amdhsa_exception_fp_ieee_div_zero 0
		.amdhsa_exception_fp_ieee_overflow 0
		.amdhsa_exception_fp_ieee_underflow 0
		.amdhsa_exception_fp_ieee_inexact 0
		.amdhsa_exception_int_div_zero 0
	.end_amdhsa_kernel
	.section	.text._ZN2at6native12cross_kernelIN3c104HalfE16OffsetCalculatorILi3EjLb0EElEEviPT_PKS6_S9_T0_T1_SB_SB_,"axG",@progbits,_ZN2at6native12cross_kernelIN3c104HalfE16OffsetCalculatorILi3EjLb0EElEEviPT_PKS6_S9_T0_T1_SB_SB_,comdat
.Lfunc_end18:
	.size	_ZN2at6native12cross_kernelIN3c104HalfE16OffsetCalculatorILi3EjLb0EElEEviPT_PKS6_S9_T0_T1_SB_SB_, .Lfunc_end18-_ZN2at6native12cross_kernelIN3c104HalfE16OffsetCalculatorILi3EjLb0EElEEviPT_PKS6_S9_T0_T1_SB_SB_
                                        ; -- End function
	.set _ZN2at6native12cross_kernelIN3c104HalfE16OffsetCalculatorILi3EjLb0EElEEviPT_PKS6_S9_T0_T1_SB_SB_.num_vgpr, 19
	.set _ZN2at6native12cross_kernelIN3c104HalfE16OffsetCalculatorILi3EjLb0EElEEviPT_PKS6_S9_T0_T1_SB_SB_.num_agpr, 0
	.set _ZN2at6native12cross_kernelIN3c104HalfE16OffsetCalculatorILi3EjLb0EElEEviPT_PKS6_S9_T0_T1_SB_SB_.numbered_sgpr, 58
	.set _ZN2at6native12cross_kernelIN3c104HalfE16OffsetCalculatorILi3EjLb0EElEEviPT_PKS6_S9_T0_T1_SB_SB_.num_named_barrier, 0
	.set _ZN2at6native12cross_kernelIN3c104HalfE16OffsetCalculatorILi3EjLb0EElEEviPT_PKS6_S9_T0_T1_SB_SB_.private_seg_size, 0
	.set _ZN2at6native12cross_kernelIN3c104HalfE16OffsetCalculatorILi3EjLb0EElEEviPT_PKS6_S9_T0_T1_SB_SB_.uses_vcc, 1
	.set _ZN2at6native12cross_kernelIN3c104HalfE16OffsetCalculatorILi3EjLb0EElEEviPT_PKS6_S9_T0_T1_SB_SB_.uses_flat_scratch, 0
	.set _ZN2at6native12cross_kernelIN3c104HalfE16OffsetCalculatorILi3EjLb0EElEEviPT_PKS6_S9_T0_T1_SB_SB_.has_dyn_sized_stack, 0
	.set _ZN2at6native12cross_kernelIN3c104HalfE16OffsetCalculatorILi3EjLb0EElEEviPT_PKS6_S9_T0_T1_SB_SB_.has_recursion, 0
	.set _ZN2at6native12cross_kernelIN3c104HalfE16OffsetCalculatorILi3EjLb0EElEEviPT_PKS6_S9_T0_T1_SB_SB_.has_indirect_call, 0
	.section	.AMDGPU.csdata,"",@progbits
; Kernel info:
; codeLenInByte = 1072
; TotalNumSgprs: 62
; NumVgprs: 19
; ScratchSize: 0
; MemoryBound: 0
; FloatMode: 240
; IeeeMode: 1
; LDSByteSize: 0 bytes/workgroup (compile time only)
; SGPRBlocks: 7
; VGPRBlocks: 4
; NumSGPRsForWavesPerEU: 62
; NumVGPRsForWavesPerEU: 19
; Occupancy: 10
; WaveLimiterHint : 1
; COMPUTE_PGM_RSRC2:SCRATCH_EN: 0
; COMPUTE_PGM_RSRC2:USER_SGPR: 6
; COMPUTE_PGM_RSRC2:TRAP_HANDLER: 0
; COMPUTE_PGM_RSRC2:TGID_X_EN: 1
; COMPUTE_PGM_RSRC2:TGID_Y_EN: 0
; COMPUTE_PGM_RSRC2:TGID_Z_EN: 0
; COMPUTE_PGM_RSRC2:TIDIG_COMP_CNT: 0
	.section	.text._ZN2at6native12cross_kernelIN3c104HalfE16OffsetCalculatorILi3EjLb0EEiEEviPT_PKS6_S9_T0_T1_SB_SB_,"axG",@progbits,_ZN2at6native12cross_kernelIN3c104HalfE16OffsetCalculatorILi3EjLb0EEiEEviPT_PKS6_S9_T0_T1_SB_SB_,comdat
	.protected	_ZN2at6native12cross_kernelIN3c104HalfE16OffsetCalculatorILi3EjLb0EEiEEviPT_PKS6_S9_T0_T1_SB_SB_ ; -- Begin function _ZN2at6native12cross_kernelIN3c104HalfE16OffsetCalculatorILi3EjLb0EEiEEviPT_PKS6_S9_T0_T1_SB_SB_
	.globl	_ZN2at6native12cross_kernelIN3c104HalfE16OffsetCalculatorILi3EjLb0EEiEEviPT_PKS6_S9_T0_T1_SB_SB_
	.p2align	8
	.type	_ZN2at6native12cross_kernelIN3c104HalfE16OffsetCalculatorILi3EjLb0EEiEEviPT_PKS6_S9_T0_T1_SB_SB_,@function
_ZN2at6native12cross_kernelIN3c104HalfE16OffsetCalculatorILi3EjLb0EEiEEviPT_PKS6_S9_T0_T1_SB_SB_: ; @_ZN2at6native12cross_kernelIN3c104HalfE16OffsetCalculatorILi3EjLb0EEiEEviPT_PKS6_S9_T0_T1_SB_SB_
; %bb.0:
	s_load_dword s24, s[4:5], 0x0
	s_load_dword s2, s[4:5], 0x1bc
	v_mov_b32_e32 v1, 0
	v_mov_b32_e32 v2, s6
	s_waitcnt lgkmcnt(0)
	s_ashr_i32 s25, s24, 31
	s_add_u32 s0, s4, 0x1b0
	s_addc_u32 s1, s5, 0
	s_and_b32 s2, s2, 0xffff
	v_mad_u64_u32 v[2:3], s[6:7], s2, v2, v[0:1]
	v_cmp_gt_i64_e32 vcc, s[24:25], v[2:3]
	s_and_saveexec_b64 s[6:7], vcc
	s_cbranch_execz .LBB19_13
; %bb.1:
	s_load_dwordx8 s[8:15], s[4:5], 0x20
	s_load_dwordx4 s[16:19], s[4:5], 0x8
	s_load_dwordx2 s[28:29], s[4:5], 0x18
	s_load_dwordx4 s[40:43], s[4:5], 0x1a4
	s_load_dword s3, s[0:1], 0x0
	s_waitcnt lgkmcnt(0)
	v_sub_co_u32_e64 v0, s[0:1], s8, 1
	s_add_u32 s26, s4, 8
	v_readfirstlane_b32 s6, v0
	s_addc_u32 s27, s5, 0
	s_xor_b64 s[0:1], s[0:1], -1
	s_min_u32 s33, s6, 15
	s_cmp_gt_u32 s8, 1
	s_cselect_b64 s[34:35], -1, 0
	s_mov_b32 s8, s13
	s_lshl_b32 s6, s42, 1
	s_mul_i32 s13, s3, s2
	s_add_i32 s2, s33, 1
	s_load_dwordx4 s[20:23], s[4:5], 0xe4
	s_load_dwordx2 s[30:31], s[4:5], 0xf4
	s_ashr_i32 s5, s41, 31
	s_mov_b32 s4, s41
	s_ashr_i32 s7, s6, 31
	s_ashr_i32 s41, s40, 31
	s_and_b32 s15, s2, 30
	s_bitcmp0_b32 s33, 0
	s_cselect_b64 s[2:3], -1, 0
	s_ashr_i32 s43, s42, 31
	s_lshl_b64 s[36:37], s[4:5], 1
	s_lshl_b64 s[4:5], s[42:43], 1
	v_cmp_lt_u32_e32 vcc, 1, v0
	s_sub_u32 s33, 0, s4
	v_cndmask_b32_e64 v0, 0, 1, vcc
	v_cndmask_b32_e64 v4, 0, 1, s[0:1]
	v_cndmask_b32_e64 v5, 0, 1, s[2:3]
	s_mov_b64 s[38:39], 0
	s_subb_u32 s44, 0, s5
	s_lshl_b64 s[40:41], s[40:41], 1
	s_lshl_b64 s[42:43], s[6:7], 1
	v_cmp_ne_u32_e64 s[0:1], 1, v0
	v_cmp_ne_u32_e64 s[2:3], 1, v4
	v_cmp_ne_u32_e64 s[4:5], 1, v5
	s_branch .LBB19_3
.LBB19_2:                               ;   in Loop: Header=BB19_3 Depth=1
	v_mov_b32_e32 v7, v1
	v_lshlrev_b64 v[5:6], 1, v[6:7]
	v_mov_b32_e32 v8, s19
	v_add_co_u32_e32 v7, vcc, s18, v5
	v_mov_b32_e32 v5, v1
	v_lshlrev_b64 v[4:5], 1, v[4:5]
	v_addc_co_u32_e32 v8, vcc, v8, v6, vcc
	v_mov_b32_e32 v6, s29
	v_add_co_u32_e32 v4, vcc, s28, v4
	v_addc_co_u32_e32 v5, vcc, v6, v5, vcc
	v_mov_b32_e32 v6, s37
	v_add_co_u32_e32 v9, vcc, s36, v7
	;; [unrolled: 3-line block ×3, first 2 shown]
	v_addc_co_u32_e32 v12, vcc, v5, v12, vcc
	global_load_ushort v13, v[9:10], off
	global_load_ushort v14, v[11:12], off
	v_add_co_u32_e32 v9, vcc, s36, v9
	v_addc_co_u32_e32 v10, vcc, v10, v6, vcc
	v_mov_b32_e32 v6, s44
	v_add_co_u32_e32 v11, vcc, s33, v11
	v_addc_co_u32_e32 v12, vcc, v12, v6, vcc
	global_load_ushort v15, v[9:10], off
	global_load_ushort v16, v[7:8], off
	;; [unrolled: 1-line block ×4, first 2 shown]
	v_lshlrev_b64 v[4:5], 1, v[0:1]
	v_add_co_u32_e32 v2, vcc, s13, v2
	v_mov_b32_e32 v0, s17
	v_addc_co_u32_e32 v3, vcc, 0, v3, vcc
	v_add_co_u32_e64 v4, s[6:7], s16, v4
	v_cmp_le_i64_e32 vcc, s[24:25], v[2:3]
	v_addc_co_u32_e64 v5, s[6:7], v0, v5, s[6:7]
	v_mov_b32_e32 v9, s41
	v_add_co_u32_e64 v6, s[6:7], s40, v4
	v_addc_co_u32_e64 v7, s[6:7], v5, v9, s[6:7]
	s_or_b64 s[38:39], vcc, s[38:39]
	v_add_co_u32_e32 v8, vcc, s40, v6
	v_addc_co_u32_e32 v9, vcc, v7, v9, vcc
	s_waitcnt vmcnt(2)
	v_mul_f16_e32 v0, v14, v16
	s_waitcnt vmcnt(1)
	v_mul_f16_e32 v10, v13, v17
	;; [unrolled: 2-line block ×3, first 2 shown]
	v_fma_f16 v11, v13, v14, -v11
	v_fma_f16 v0, v15, v17, -v0
	v_fma_f16 v10, v18, v16, -v10
	global_store_short v[4:5], v11, off
	global_store_short v[6:7], v0, off
	;; [unrolled: 1-line block ×3, first 2 shown]
	s_andn2_b64 exec, exec, s[38:39]
	s_cbranch_execz .LBB19_13
.LBB19_3:                               ; =>This Loop Header: Depth=1
                                        ;     Child Loop BB19_6 Depth 2
	s_and_b64 vcc, exec, s[0:1]
	s_mov_b64 s[6:7], -1
                                        ; implicit-def: $vgpr6
                                        ; implicit-def: $vgpr4
	s_cbranch_vccnz .LBB19_10
; %bb.4:                                ;   in Loop: Header=BB19_3 Depth=1
	v_mov_b32_e32 v0, 0
	s_and_b64 vcc, exec, s[2:3]
	v_mov_b32_e32 v6, 0
	v_mov_b32_e32 v4, 0
	s_cbranch_vccnz .LBB19_9
; %bb.5:                                ;   in Loop: Header=BB19_3 Depth=1
	v_mov_b32_e32 v4, 0
	s_mov_b32 s45, s15
	s_mov_b64 s[6:7], s[26:27]
	v_mov_b32_e32 v6, 0
	v_mov_b32_e32 v0, v4
	;; [unrolled: 1-line block ×3, first 2 shown]
.LBB19_6:                               ;   Parent Loop BB19_3 Depth=1
                                        ; =>  This Inner Loop Header: Depth=2
	s_load_dwordx4 s[48:51], s[6:7], 0x1c
	s_load_dwordx2 s[46:47], s[6:7], 0x2c
	s_load_dwordx2 s[56:57], s[6:7], 0xec
	s_load_dwordx4 s[52:55], s[6:7], 0xdc
	s_add_u32 s6, s6, 24
	s_waitcnt lgkmcnt(0)
	v_mul_hi_u32 v7, s49, v5
	s_addc_u32 s7, s7, 0
	s_add_i32 s45, s45, -2
	s_cmp_lg_u32 s45, 0
	v_add_u32_e32 v7, v5, v7
	v_lshrrev_b32_e32 v7, s50, v7
	v_mul_lo_u32 v8, v7, s48
	v_mul_hi_u32 v9, s46, v7
	v_sub_u32_e32 v8, v5, v8
	v_add_u32_e32 v5, v7, v9
	v_lshrrev_b32_e32 v5, s47, v5
	v_mul_lo_u32 v11, v5, s51
	v_mul_lo_u32 v9, v8, s52
	;; [unrolled: 1-line block ×4, first 2 shown]
	v_sub_u32_e32 v7, v7, v11
	v_mul_lo_u32 v11, v7, s55
	v_mul_lo_u32 v12, v7, s56
	;; [unrolled: 1-line block ×3, first 2 shown]
	v_add3_u32 v0, v9, v0, v11
	v_add3_u32 v6, v10, v6, v12
	;; [unrolled: 1-line block ×3, first 2 shown]
	s_cbranch_scc1 .LBB19_6
; %bb.7:                                ;   in Loop: Header=BB19_3 Depth=1
	s_and_b64 vcc, exec, s[4:5]
	s_cbranch_vccnz .LBB19_9
; %bb.8:                                ;   in Loop: Header=BB19_3 Depth=1
	s_load_dwordx2 s[46:47], s[6:7], 0x1c
	s_load_dword s45, s[6:7], 0x24
	s_load_dwordx2 s[48:49], s[6:7], 0xdc
	s_waitcnt lgkmcnt(0)
	v_mul_hi_u32 v7, s47, v5
	v_add_u32_e32 v7, v5, v7
	v_lshrrev_b32_e32 v7, s45, v7
	v_mul_lo_u32 v7, v7, s46
	s_load_dword s45, s[6:7], 0xe4
	v_sub_u32_e32 v5, v5, v7
	v_mad_u64_u32 v[8:9], s[6:7], v5, s48, v[0:1]
	v_mad_u64_u32 v[6:7], s[6:7], v5, s49, v[6:7]
	s_waitcnt lgkmcnt(0)
	v_mad_u64_u32 v[4:5], s[6:7], v5, s45, v[4:5]
	v_mov_b32_e32 v0, v8
.LBB19_9:                               ;   in Loop: Header=BB19_3 Depth=1
	s_mov_b64 s[6:7], 0
.LBB19_10:                              ;   in Loop: Header=BB19_3 Depth=1
	s_andn2_b64 vcc, exec, s[6:7]
	s_cbranch_vccnz .LBB19_2
; %bb.11:                               ;   in Loop: Header=BB19_3 Depth=1
	v_mul_lo_u32 v0, v3, s10
	v_mul_hi_u32 v4, v2, s10
	s_andn2_b64 vcc, exec, s[34:35]
	v_add3_u32 v0, v4, v0, v2
	v_lshrrev_b32_e32 v5, s11, v0
	v_mul_lo_u32 v0, v5, s9
	v_sub_u32_e32 v4, v2, v0
	s_waitcnt lgkmcnt(0)
	v_mul_lo_u32 v0, v4, s20
	v_mul_lo_u32 v6, v4, s21
	;; [unrolled: 1-line block ×3, first 2 shown]
	s_cbranch_vccnz .LBB19_2
; %bb.12:                               ;   in Loop: Header=BB19_3 Depth=1
	v_mul_hi_u32 v7, s8, v5
	v_add_u32_e32 v7, v5, v7
	v_lshrrev_b32_e32 v7, s14, v7
	v_mul_lo_u32 v7, v7, s12
	v_sub_u32_e32 v5, v5, v7
	v_mad_u64_u32 v[8:9], s[6:7], v5, s23, v[0:1]
	v_mad_u64_u32 v[6:7], s[6:7], v5, s30, v[6:7]
	;; [unrolled: 1-line block ×3, first 2 shown]
	v_mov_b32_e32 v0, v8
	s_branch .LBB19_2
.LBB19_13:
	s_endpgm
	.section	.rodata,"a",@progbits
	.p2align	6, 0x0
	.amdhsa_kernel _ZN2at6native12cross_kernelIN3c104HalfE16OffsetCalculatorILi3EjLb0EEiEEviPT_PKS6_S9_T0_T1_SB_SB_
		.amdhsa_group_segment_fixed_size 0
		.amdhsa_private_segment_fixed_size 0
		.amdhsa_kernarg_size 688
		.amdhsa_user_sgpr_count 6
		.amdhsa_user_sgpr_private_segment_buffer 1
		.amdhsa_user_sgpr_dispatch_ptr 0
		.amdhsa_user_sgpr_queue_ptr 0
		.amdhsa_user_sgpr_kernarg_segment_ptr 1
		.amdhsa_user_sgpr_dispatch_id 0
		.amdhsa_user_sgpr_flat_scratch_init 0
		.amdhsa_user_sgpr_private_segment_size 0
		.amdhsa_uses_dynamic_stack 0
		.amdhsa_system_sgpr_private_segment_wavefront_offset 0
		.amdhsa_system_sgpr_workgroup_id_x 1
		.amdhsa_system_sgpr_workgroup_id_y 0
		.amdhsa_system_sgpr_workgroup_id_z 0
		.amdhsa_system_sgpr_workgroup_info 0
		.amdhsa_system_vgpr_workitem_id 0
		.amdhsa_next_free_vgpr 19
		.amdhsa_next_free_sgpr 58
		.amdhsa_reserve_vcc 1
		.amdhsa_reserve_flat_scratch 0
		.amdhsa_float_round_mode_32 0
		.amdhsa_float_round_mode_16_64 0
		.amdhsa_float_denorm_mode_32 3
		.amdhsa_float_denorm_mode_16_64 3
		.amdhsa_dx10_clamp 1
		.amdhsa_ieee_mode 1
		.amdhsa_fp16_overflow 0
		.amdhsa_exception_fp_ieee_invalid_op 0
		.amdhsa_exception_fp_denorm_src 0
		.amdhsa_exception_fp_ieee_div_zero 0
		.amdhsa_exception_fp_ieee_overflow 0
		.amdhsa_exception_fp_ieee_underflow 0
		.amdhsa_exception_fp_ieee_inexact 0
		.amdhsa_exception_int_div_zero 0
	.end_amdhsa_kernel
	.section	.text._ZN2at6native12cross_kernelIN3c104HalfE16OffsetCalculatorILi3EjLb0EEiEEviPT_PKS6_S9_T0_T1_SB_SB_,"axG",@progbits,_ZN2at6native12cross_kernelIN3c104HalfE16OffsetCalculatorILi3EjLb0EEiEEviPT_PKS6_S9_T0_T1_SB_SB_,comdat
.Lfunc_end19:
	.size	_ZN2at6native12cross_kernelIN3c104HalfE16OffsetCalculatorILi3EjLb0EEiEEviPT_PKS6_S9_T0_T1_SB_SB_, .Lfunc_end19-_ZN2at6native12cross_kernelIN3c104HalfE16OffsetCalculatorILi3EjLb0EEiEEviPT_PKS6_S9_T0_T1_SB_SB_
                                        ; -- End function
	.set _ZN2at6native12cross_kernelIN3c104HalfE16OffsetCalculatorILi3EjLb0EEiEEviPT_PKS6_S9_T0_T1_SB_SB_.num_vgpr, 19
	.set _ZN2at6native12cross_kernelIN3c104HalfE16OffsetCalculatorILi3EjLb0EEiEEviPT_PKS6_S9_T0_T1_SB_SB_.num_agpr, 0
	.set _ZN2at6native12cross_kernelIN3c104HalfE16OffsetCalculatorILi3EjLb0EEiEEviPT_PKS6_S9_T0_T1_SB_SB_.numbered_sgpr, 58
	.set _ZN2at6native12cross_kernelIN3c104HalfE16OffsetCalculatorILi3EjLb0EEiEEviPT_PKS6_S9_T0_T1_SB_SB_.num_named_barrier, 0
	.set _ZN2at6native12cross_kernelIN3c104HalfE16OffsetCalculatorILi3EjLb0EEiEEviPT_PKS6_S9_T0_T1_SB_SB_.private_seg_size, 0
	.set _ZN2at6native12cross_kernelIN3c104HalfE16OffsetCalculatorILi3EjLb0EEiEEviPT_PKS6_S9_T0_T1_SB_SB_.uses_vcc, 1
	.set _ZN2at6native12cross_kernelIN3c104HalfE16OffsetCalculatorILi3EjLb0EEiEEviPT_PKS6_S9_T0_T1_SB_SB_.uses_flat_scratch, 0
	.set _ZN2at6native12cross_kernelIN3c104HalfE16OffsetCalculatorILi3EjLb0EEiEEviPT_PKS6_S9_T0_T1_SB_SB_.has_dyn_sized_stack, 0
	.set _ZN2at6native12cross_kernelIN3c104HalfE16OffsetCalculatorILi3EjLb0EEiEEviPT_PKS6_S9_T0_T1_SB_SB_.has_recursion, 0
	.set _ZN2at6native12cross_kernelIN3c104HalfE16OffsetCalculatorILi3EjLb0EEiEEviPT_PKS6_S9_T0_T1_SB_SB_.has_indirect_call, 0
	.section	.AMDGPU.csdata,"",@progbits
; Kernel info:
; codeLenInByte = 1088
; TotalNumSgprs: 62
; NumVgprs: 19
; ScratchSize: 0
; MemoryBound: 0
; FloatMode: 240
; IeeeMode: 1
; LDSByteSize: 0 bytes/workgroup (compile time only)
; SGPRBlocks: 7
; VGPRBlocks: 4
; NumSGPRsForWavesPerEU: 62
; NumVGPRsForWavesPerEU: 19
; Occupancy: 10
; WaveLimiterHint : 1
; COMPUTE_PGM_RSRC2:SCRATCH_EN: 0
; COMPUTE_PGM_RSRC2:USER_SGPR: 6
; COMPUTE_PGM_RSRC2:TRAP_HANDLER: 0
; COMPUTE_PGM_RSRC2:TGID_X_EN: 1
; COMPUTE_PGM_RSRC2:TGID_Y_EN: 0
; COMPUTE_PGM_RSRC2:TGID_Z_EN: 0
; COMPUTE_PGM_RSRC2:TIDIG_COMP_CNT: 0
	.section	.text._ZN2at6native12cross_kernelIN3c108BFloat16E16OffsetCalculatorILi3EjLb0EElEEviPT_PKS6_S9_T0_T1_SB_SB_,"axG",@progbits,_ZN2at6native12cross_kernelIN3c108BFloat16E16OffsetCalculatorILi3EjLb0EElEEviPT_PKS6_S9_T0_T1_SB_SB_,comdat
	.protected	_ZN2at6native12cross_kernelIN3c108BFloat16E16OffsetCalculatorILi3EjLb0EElEEviPT_PKS6_S9_T0_T1_SB_SB_ ; -- Begin function _ZN2at6native12cross_kernelIN3c108BFloat16E16OffsetCalculatorILi3EjLb0EElEEviPT_PKS6_S9_T0_T1_SB_SB_
	.globl	_ZN2at6native12cross_kernelIN3c108BFloat16E16OffsetCalculatorILi3EjLb0EElEEviPT_PKS6_S9_T0_T1_SB_SB_
	.p2align	8
	.type	_ZN2at6native12cross_kernelIN3c108BFloat16E16OffsetCalculatorILi3EjLb0EElEEviPT_PKS6_S9_T0_T1_SB_SB_,@function
_ZN2at6native12cross_kernelIN3c108BFloat16E16OffsetCalculatorILi3EjLb0EElEEviPT_PKS6_S9_T0_T1_SB_SB_: ; @_ZN2at6native12cross_kernelIN3c108BFloat16E16OffsetCalculatorILi3EjLb0EElEEviPT_PKS6_S9_T0_T1_SB_SB_
; %bb.0:
	s_load_dword s24, s[4:5], 0x0
	s_load_dword s2, s[4:5], 0x1cc
	v_mov_b32_e32 v1, 0
	v_mov_b32_e32 v2, s6
	s_waitcnt lgkmcnt(0)
	s_ashr_i32 s25, s24, 31
	s_add_u32 s0, s4, 0x1c0
	s_addc_u32 s1, s5, 0
	s_and_b32 s2, s2, 0xffff
	v_mad_u64_u32 v[2:3], s[6:7], s2, v2, v[0:1]
	v_cmp_gt_i64_e32 vcc, s[24:25], v[2:3]
	s_and_saveexec_b64 s[6:7], vcc
	s_cbranch_execz .LBB20_13
; %bb.1:
	s_load_dwordx4 s[16:19], s[4:5], 0x8
	s_load_dwordx2 s[26:27], s[4:5], 0x18
	s_load_dwordx8 s[8:15], s[4:5], 0x20
	s_load_dwordx2 s[40:41], s[4:5], 0x1b8
	s_load_dwordx4 s[48:51], s[4:5], 0x1a8
	s_load_dword s3, s[0:1], 0x0
	s_add_u32 s6, s4, 8
	s_waitcnt lgkmcnt(0)
	v_sub_co_u32_e64 v0, s[0:1], s8, 1
	v_readfirstlane_b32 s15, v0
	s_addc_u32 s7, s5, 0
	s_xor_b64 s[0:1], s[0:1], -1
	s_min_u32 s33, s15, 15
	s_cmp_gt_u32 s8, 1
	s_cselect_b64 s[30:31], -1, 0
	s_mov_b32 s8, s13
	s_mul_i32 s13, s3, s2
	s_add_i32 s2, s33, 1
	s_load_dwordx4 s[20:23], s[4:5], 0xe4
	s_load_dwordx2 s[28:29], s[4:5], 0xf4
	s_lshl_b64 s[34:35], s[40:41], 2
	s_and_b32 s15, s2, 30
	s_bitcmp0_b32 s33, 0
	s_cselect_b64 s[36:37], -1, 0
	s_lshl_b64 s[38:39], s[50:51], 1
	s_lshl_b64 s[2:3], s[40:41], 1
	v_cmp_lt_u32_e32 vcc, 1, v0
	s_sub_u32 s33, 0, s2
	v_cndmask_b32_e64 v0, 0, 1, vcc
	v_cndmask_b32_e64 v4, 0, 1, s[0:1]
	s_mov_b64 s[40:41], 0
	s_subb_u32 s44, 0, s3
	s_lshl_b64 s[42:43], s[48:49], 1
	s_movk_i32 s45, 0x7fff
	v_cmp_ne_u32_e64 s[0:1], 1, v0
	v_cmp_ne_u32_e64 s[2:3], 1, v4
	v_mov_b32_e32 v8, 0x7fc00000
	v_mov_b32_e32 v9, 0x7fc0
	;; [unrolled: 1-line block ×3, first 2 shown]
	s_branch .LBB20_3
.LBB20_2:                               ;   in Loop: Header=BB20_3 Depth=1
	v_mov_b32_e32 v7, v1
	v_lshlrev_b64 v[5:6], 1, v[6:7]
	v_mov_b32_e32 v7, s19
	v_add_co_u32_e32 v11, vcc, s18, v5
	v_mov_b32_e32 v5, v1
	v_lshlrev_b64 v[4:5], 1, v[4:5]
	v_addc_co_u32_e32 v12, vcc, v7, v6, vcc
	v_mov_b32_e32 v6, s27
	v_add_co_u32_e32 v4, vcc, s26, v4
	v_addc_co_u32_e32 v5, vcc, v6, v5, vcc
	v_mov_b32_e32 v16, s39
	v_add_co_u32_e32 v6, vcc, s38, v11
	;; [unrolled: 3-line block ×3, first 2 shown]
	v_addc_co_u32_e32 v14, vcc, v5, v14, vcc
	v_add_co_u32_e32 v15, vcc, s38, v6
	global_load_ushort v17, v[13:14], off
	v_addc_co_u32_e32 v16, vcc, v7, v16, vcc
	v_mov_b32_e32 v18, s44
	global_load_ushort v19, v[4:5], off
	global_load_ushort v20, v[11:12], off
	v_add_co_u32_e32 v4, vcc, s33, v13
	v_addc_co_u32_e32 v5, vcc, v14, v18, vcc
	global_load_ushort v11, v[6:7], off
	global_load_ushort v12, v[15:16], off
	;; [unrolled: 1-line block ×3, first 2 shown]
	v_lshlrev_b64 v[4:5], 1, v[0:1]
	v_mov_b32_e32 v0, s17
	v_add_co_u32_e32 v4, vcc, s16, v4
	v_addc_co_u32_e32 v5, vcc, v0, v5, vcc
	s_waitcnt vmcnt(5)
	v_lshlrev_b32_e32 v7, 16, v17
	s_waitcnt vmcnt(4)
	v_lshlrev_b32_e32 v6, 16, v19
	;; [unrolled: 2-line block ×4, first 2 shown]
	v_mul_f32_e32 v14, v11, v7
	s_waitcnt vmcnt(1)
	v_lshlrev_b32_e32 v12, 16, v12
	s_waitcnt vmcnt(0)
	v_lshlrev_b32_e32 v13, 16, v13
	v_mul_f32_e32 v7, v0, v7
	v_bfe_u32 v15, v14, 16, 1
	v_mul_f32_e32 v11, v11, v6
	v_mul_f32_e32 v16, v13, v12
	;; [unrolled: 1-line block ×3, first 2 shown]
	v_bfe_u32 v12, v7, 16, 1
	v_add3_u32 v15, v14, v15, s45
	v_mul_f32_e32 v0, v13, v0
	v_and_b32_sdwa v13, v11, v10 dst_sel:DWORD dst_unused:UNUSED_PAD src0_sel:WORD_1 src1_sel:DWORD
	v_add3_u32 v12, v7, v12, s45
	v_and_b32_e32 v15, 0xffff0000, v15
	v_cmp_o_f32_e32 vcc, v14, v14
	v_bfe_u32 v17, v16, 16, 1
	v_add3_u32 v13, v11, v13, s45
	v_and_b32_e32 v12, 0xffff0000, v12
	v_cndmask_b32_e32 v15, v8, v15, vcc
	v_cmp_o_f32_e32 vcc, v7, v7
	v_bfe_u32 v18, v6, 16, 1
	v_add3_u32 v17, v16, v17, s45
	v_and_b32_e32 v13, 0xffff0000, v13
	v_cndmask_b32_e32 v7, v8, v12, vcc
	v_cmp_o_f32_e32 vcc, v11, v11
	v_add3_u32 v18, v6, v18, s45
	v_and_b32_e32 v17, 0xffff0000, v17
	v_cndmask_b32_e32 v11, v8, v13, vcc
	v_cmp_o_f32_e32 vcc, v16, v16
	v_and_b32_e32 v18, 0xffff0000, v18
	v_cndmask_b32_e32 v13, v8, v17, vcc
	v_cmp_o_f32_e32 vcc, v6, v6
	v_and_b32_sdwa v14, v0, v10 dst_sel:DWORD dst_unused:UNUSED_PAD src0_sel:WORD_1 src1_sel:DWORD
	v_cndmask_b32_e32 v6, v8, v18, vcc
	v_sub_f32_e32 v13, v15, v13
	v_add3_u32 v14, v0, v14, s45
	v_sub_f32_e32 v6, v6, v7
	v_bfe_u32 v7, v13, 16, 1
	v_and_b32_e32 v12, 0xffff0000, v14
	v_bfe_u32 v14, v6, 16, 1
	v_add3_u32 v7, v13, v7, s45
	v_add3_u32 v14, v6, v14, s45
	v_lshrrev_b32_e32 v7, 16, v7
	v_cmp_o_f32_e32 vcc, v13, v13
	v_lshrrev_b32_e32 v14, 16, v14
	v_cndmask_b32_e32 v7, v9, v7, vcc
	v_cmp_o_f32_e32 vcc, v6, v6
	v_cndmask_b32_e32 v6, v9, v14, vcc
	v_cmp_o_f32_e32 vcc, v0, v0
	v_cndmask_b32_e32 v0, v8, v12, vcc
	v_sub_f32_e32 v0, v0, v11
	v_bfe_u32 v11, v0, 16, 1
	v_add3_u32 v11, v0, v11, s45
	v_lshrrev_b32_e32 v11, 16, v11
	v_cmp_o_f32_e32 vcc, v0, v0
	v_cndmask_b32_e32 v0, v9, v11, vcc
	global_store_short v[4:5], v7, off
	v_mov_b32_e32 v7, s43
	v_add_co_u32_e32 v4, vcc, s42, v4
	v_addc_co_u32_e32 v5, vcc, v5, v7, vcc
	v_add_co_u32_e32 v2, vcc, s13, v2
	v_addc_co_u32_e32 v3, vcc, 0, v3, vcc
	v_cmp_le_i64_e32 vcc, s[24:25], v[2:3]
	global_store_short v[4:5], v6, off
	v_add_co_u32_e64 v4, s[4:5], s42, v4
	v_addc_co_u32_e64 v5, s[4:5], v5, v7, s[4:5]
	s_or_b64 s[40:41], vcc, s[40:41]
	global_store_short v[4:5], v0, off
	s_andn2_b64 exec, exec, s[40:41]
	s_cbranch_execz .LBB20_13
.LBB20_3:                               ; =>This Loop Header: Depth=1
                                        ;     Child Loop BB20_6 Depth 2
	s_and_b64 vcc, exec, s[0:1]
	s_mov_b64 s[4:5], -1
                                        ; implicit-def: $vgpr6
                                        ; implicit-def: $vgpr4
	s_cbranch_vccnz .LBB20_10
; %bb.4:                                ;   in Loop: Header=BB20_3 Depth=1
	v_mov_b32_e32 v0, 0
	s_and_b64 vcc, exec, s[2:3]
	v_mov_b32_e32 v6, 0
	v_mov_b32_e32 v4, 0
	s_cbranch_vccnz .LBB20_9
; %bb.5:                                ;   in Loop: Header=BB20_3 Depth=1
	v_mov_b32_e32 v4, 0
	s_mov_b32 s46, s15
	s_mov_b64 s[4:5], s[6:7]
	v_mov_b32_e32 v6, 0
	v_mov_b32_e32 v0, v4
	;; [unrolled: 1-line block ×3, first 2 shown]
.LBB20_6:                               ;   Parent Loop BB20_3 Depth=1
                                        ; =>  This Inner Loop Header: Depth=2
	s_load_dwordx4 s[48:51], s[4:5], 0x1c
	s_load_dwordx2 s[56:57], s[4:5], 0x2c
	s_load_dwordx2 s[58:59], s[4:5], 0xec
	s_load_dwordx4 s[52:55], s[4:5], 0xdc
	s_add_u32 s4, s4, 24
	s_waitcnt lgkmcnt(0)
	v_mul_hi_u32 v7, s49, v5
	s_addc_u32 s5, s5, 0
	s_add_i32 s46, s46, -2
	s_cmp_lg_u32 s46, 0
	v_add_u32_e32 v7, v5, v7
	v_lshrrev_b32_e32 v7, s50, v7
	v_mul_lo_u32 v11, v7, s48
	v_mul_hi_u32 v12, s56, v7
	v_sub_u32_e32 v11, v5, v11
	v_add_u32_e32 v5, v7, v12
	v_lshrrev_b32_e32 v5, s57, v5
	v_mul_lo_u32 v14, v5, s51
	v_mul_lo_u32 v12, v11, s52
	;; [unrolled: 1-line block ×4, first 2 shown]
	v_sub_u32_e32 v7, v7, v14
	v_mul_lo_u32 v14, v7, s55
	v_mul_lo_u32 v15, v7, s58
	;; [unrolled: 1-line block ×3, first 2 shown]
	v_add3_u32 v0, v12, v0, v14
	v_add3_u32 v6, v13, v6, v15
	;; [unrolled: 1-line block ×3, first 2 shown]
	s_cbranch_scc1 .LBB20_6
; %bb.7:                                ;   in Loop: Header=BB20_3 Depth=1
	s_andn2_b64 vcc, exec, s[36:37]
	s_cbranch_vccnz .LBB20_9
; %bb.8:                                ;   in Loop: Header=BB20_3 Depth=1
	s_load_dwordx2 s[46:47], s[4:5], 0x1c
	s_load_dword s50, s[4:5], 0x24
	s_load_dwordx2 s[48:49], s[4:5], 0xdc
	s_waitcnt lgkmcnt(0)
	v_mul_hi_u32 v7, s47, v5
	v_add_u32_e32 v7, v5, v7
	v_lshrrev_b32_e32 v7, s50, v7
	v_mul_lo_u32 v7, v7, s46
	s_load_dword s46, s[4:5], 0xe4
	v_sub_u32_e32 v5, v5, v7
	v_mad_u64_u32 v[11:12], s[4:5], v5, s48, v[0:1]
	v_mad_u64_u32 v[6:7], s[4:5], v5, s49, v[6:7]
	s_waitcnt lgkmcnt(0)
	v_mad_u64_u32 v[4:5], s[4:5], v5, s46, v[4:5]
	v_mov_b32_e32 v0, v11
.LBB20_9:                               ;   in Loop: Header=BB20_3 Depth=1
	s_mov_b64 s[4:5], 0
.LBB20_10:                              ;   in Loop: Header=BB20_3 Depth=1
	s_andn2_b64 vcc, exec, s[4:5]
	s_cbranch_vccnz .LBB20_2
; %bb.11:                               ;   in Loop: Header=BB20_3 Depth=1
	v_mul_lo_u32 v0, v3, s10
	v_mul_hi_u32 v4, v2, s10
	s_andn2_b64 vcc, exec, s[30:31]
	v_add3_u32 v0, v4, v0, v2
	v_lshrrev_b32_e32 v5, s11, v0
	v_mul_lo_u32 v0, v5, s9
	v_sub_u32_e32 v4, v2, v0
	s_waitcnt lgkmcnt(0)
	v_mul_lo_u32 v0, v4, s20
	v_mul_lo_u32 v6, v4, s21
	;; [unrolled: 1-line block ×3, first 2 shown]
	s_cbranch_vccnz .LBB20_2
; %bb.12:                               ;   in Loop: Header=BB20_3 Depth=1
	v_mul_hi_u32 v7, s8, v5
	v_add_u32_e32 v7, v5, v7
	v_lshrrev_b32_e32 v7, s14, v7
	v_mul_lo_u32 v7, v7, s12
	v_sub_u32_e32 v5, v5, v7
	v_mad_u64_u32 v[11:12], s[4:5], v5, s23, v[0:1]
	v_mad_u64_u32 v[6:7], s[4:5], v5, s28, v[6:7]
	;; [unrolled: 1-line block ×3, first 2 shown]
	v_mov_b32_e32 v0, v11
	s_branch .LBB20_2
.LBB20_13:
	s_endpgm
	.section	.rodata,"a",@progbits
	.p2align	6, 0x0
	.amdhsa_kernel _ZN2at6native12cross_kernelIN3c108BFloat16E16OffsetCalculatorILi3EjLb0EElEEviPT_PKS6_S9_T0_T1_SB_SB_
		.amdhsa_group_segment_fixed_size 0
		.amdhsa_private_segment_fixed_size 0
		.amdhsa_kernarg_size 704
		.amdhsa_user_sgpr_count 6
		.amdhsa_user_sgpr_private_segment_buffer 1
		.amdhsa_user_sgpr_dispatch_ptr 0
		.amdhsa_user_sgpr_queue_ptr 0
		.amdhsa_user_sgpr_kernarg_segment_ptr 1
		.amdhsa_user_sgpr_dispatch_id 0
		.amdhsa_user_sgpr_flat_scratch_init 0
		.amdhsa_user_sgpr_private_segment_size 0
		.amdhsa_uses_dynamic_stack 0
		.amdhsa_system_sgpr_private_segment_wavefront_offset 0
		.amdhsa_system_sgpr_workgroup_id_x 1
		.amdhsa_system_sgpr_workgroup_id_y 0
		.amdhsa_system_sgpr_workgroup_id_z 0
		.amdhsa_system_sgpr_workgroup_info 0
		.amdhsa_system_vgpr_workitem_id 0
		.amdhsa_next_free_vgpr 21
		.amdhsa_next_free_sgpr 60
		.amdhsa_reserve_vcc 1
		.amdhsa_reserve_flat_scratch 0
		.amdhsa_float_round_mode_32 0
		.amdhsa_float_round_mode_16_64 0
		.amdhsa_float_denorm_mode_32 3
		.amdhsa_float_denorm_mode_16_64 3
		.amdhsa_dx10_clamp 1
		.amdhsa_ieee_mode 1
		.amdhsa_fp16_overflow 0
		.amdhsa_exception_fp_ieee_invalid_op 0
		.amdhsa_exception_fp_denorm_src 0
		.amdhsa_exception_fp_ieee_div_zero 0
		.amdhsa_exception_fp_ieee_overflow 0
		.amdhsa_exception_fp_ieee_underflow 0
		.amdhsa_exception_fp_ieee_inexact 0
		.amdhsa_exception_int_div_zero 0
	.end_amdhsa_kernel
	.section	.text._ZN2at6native12cross_kernelIN3c108BFloat16E16OffsetCalculatorILi3EjLb0EElEEviPT_PKS6_S9_T0_T1_SB_SB_,"axG",@progbits,_ZN2at6native12cross_kernelIN3c108BFloat16E16OffsetCalculatorILi3EjLb0EElEEviPT_PKS6_S9_T0_T1_SB_SB_,comdat
.Lfunc_end20:
	.size	_ZN2at6native12cross_kernelIN3c108BFloat16E16OffsetCalculatorILi3EjLb0EElEEviPT_PKS6_S9_T0_T1_SB_SB_, .Lfunc_end20-_ZN2at6native12cross_kernelIN3c108BFloat16E16OffsetCalculatorILi3EjLb0EElEEviPT_PKS6_S9_T0_T1_SB_SB_
                                        ; -- End function
	.set _ZN2at6native12cross_kernelIN3c108BFloat16E16OffsetCalculatorILi3EjLb0EElEEviPT_PKS6_S9_T0_T1_SB_SB_.num_vgpr, 21
	.set _ZN2at6native12cross_kernelIN3c108BFloat16E16OffsetCalculatorILi3EjLb0EElEEviPT_PKS6_S9_T0_T1_SB_SB_.num_agpr, 0
	.set _ZN2at6native12cross_kernelIN3c108BFloat16E16OffsetCalculatorILi3EjLb0EElEEviPT_PKS6_S9_T0_T1_SB_SB_.numbered_sgpr, 60
	.set _ZN2at6native12cross_kernelIN3c108BFloat16E16OffsetCalculatorILi3EjLb0EElEEviPT_PKS6_S9_T0_T1_SB_SB_.num_named_barrier, 0
	.set _ZN2at6native12cross_kernelIN3c108BFloat16E16OffsetCalculatorILi3EjLb0EElEEviPT_PKS6_S9_T0_T1_SB_SB_.private_seg_size, 0
	.set _ZN2at6native12cross_kernelIN3c108BFloat16E16OffsetCalculatorILi3EjLb0EElEEviPT_PKS6_S9_T0_T1_SB_SB_.uses_vcc, 1
	.set _ZN2at6native12cross_kernelIN3c108BFloat16E16OffsetCalculatorILi3EjLb0EElEEviPT_PKS6_S9_T0_T1_SB_SB_.uses_flat_scratch, 0
	.set _ZN2at6native12cross_kernelIN3c108BFloat16E16OffsetCalculatorILi3EjLb0EElEEviPT_PKS6_S9_T0_T1_SB_SB_.has_dyn_sized_stack, 0
	.set _ZN2at6native12cross_kernelIN3c108BFloat16E16OffsetCalculatorILi3EjLb0EElEEviPT_PKS6_S9_T0_T1_SB_SB_.has_recursion, 0
	.set _ZN2at6native12cross_kernelIN3c108BFloat16E16OffsetCalculatorILi3EjLb0EElEEviPT_PKS6_S9_T0_T1_SB_SB_.has_indirect_call, 0
	.section	.AMDGPU.csdata,"",@progbits
; Kernel info:
; codeLenInByte = 1384
; TotalNumSgprs: 64
; NumVgprs: 21
; ScratchSize: 0
; MemoryBound: 0
; FloatMode: 240
; IeeeMode: 1
; LDSByteSize: 0 bytes/workgroup (compile time only)
; SGPRBlocks: 7
; VGPRBlocks: 5
; NumSGPRsForWavesPerEU: 64
; NumVGPRsForWavesPerEU: 21
; Occupancy: 10
; WaveLimiterHint : 1
; COMPUTE_PGM_RSRC2:SCRATCH_EN: 0
; COMPUTE_PGM_RSRC2:USER_SGPR: 6
; COMPUTE_PGM_RSRC2:TRAP_HANDLER: 0
; COMPUTE_PGM_RSRC2:TGID_X_EN: 1
; COMPUTE_PGM_RSRC2:TGID_Y_EN: 0
; COMPUTE_PGM_RSRC2:TGID_Z_EN: 0
; COMPUTE_PGM_RSRC2:TIDIG_COMP_CNT: 0
	.section	.text._ZN2at6native12cross_kernelIN3c108BFloat16E16OffsetCalculatorILi3EjLb0EEiEEviPT_PKS6_S9_T0_T1_SB_SB_,"axG",@progbits,_ZN2at6native12cross_kernelIN3c108BFloat16E16OffsetCalculatorILi3EjLb0EEiEEviPT_PKS6_S9_T0_T1_SB_SB_,comdat
	.protected	_ZN2at6native12cross_kernelIN3c108BFloat16E16OffsetCalculatorILi3EjLb0EEiEEviPT_PKS6_S9_T0_T1_SB_SB_ ; -- Begin function _ZN2at6native12cross_kernelIN3c108BFloat16E16OffsetCalculatorILi3EjLb0EEiEEviPT_PKS6_S9_T0_T1_SB_SB_
	.globl	_ZN2at6native12cross_kernelIN3c108BFloat16E16OffsetCalculatorILi3EjLb0EEiEEviPT_PKS6_S9_T0_T1_SB_SB_
	.p2align	8
	.type	_ZN2at6native12cross_kernelIN3c108BFloat16E16OffsetCalculatorILi3EjLb0EEiEEviPT_PKS6_S9_T0_T1_SB_SB_,@function
_ZN2at6native12cross_kernelIN3c108BFloat16E16OffsetCalculatorILi3EjLb0EEiEEviPT_PKS6_S9_T0_T1_SB_SB_: ; @_ZN2at6native12cross_kernelIN3c108BFloat16E16OffsetCalculatorILi3EjLb0EEiEEviPT_PKS6_S9_T0_T1_SB_SB_
; %bb.0:
	s_load_dword s24, s[4:5], 0x0
	s_load_dword s2, s[4:5], 0x1bc
	v_mov_b32_e32 v1, 0
	v_mov_b32_e32 v2, s6
	s_waitcnt lgkmcnt(0)
	s_ashr_i32 s25, s24, 31
	s_add_u32 s0, s4, 0x1b0
	s_addc_u32 s1, s5, 0
	s_and_b32 s2, s2, 0xffff
	v_mad_u64_u32 v[2:3], s[6:7], s2, v2, v[0:1]
	v_cmp_gt_i64_e32 vcc, s[24:25], v[2:3]
	s_and_saveexec_b64 s[6:7], vcc
	s_cbranch_execz .LBB21_13
; %bb.1:
	s_load_dwordx8 s[8:15], s[4:5], 0x20
	s_load_dwordx4 s[16:19], s[4:5], 0x8
	s_load_dwordx2 s[26:27], s[4:5], 0x18
	s_load_dwordx4 s[40:43], s[4:5], 0x1a4
	s_load_dword s3, s[0:1], 0x0
	s_waitcnt lgkmcnt(0)
	v_sub_co_u32_e64 v0, s[0:1], s8, 1
	s_add_u32 s6, s4, 8
	v_readfirstlane_b32 s15, v0
	s_addc_u32 s7, s5, 0
	s_xor_b64 s[0:1], s[0:1], -1
	s_min_u32 s33, s15, 15
	s_cmp_gt_u32 s8, 1
	s_cselect_b64 s[30:31], -1, 0
	s_mov_b32 s8, s13
	s_lshl_b32 s46, s42, 1
	s_mul_i32 s13, s3, s2
	s_add_i32 s2, s33, 1
	s_load_dwordx4 s[20:23], s[4:5], 0xe4
	s_load_dwordx2 s[28:29], s[4:5], 0xf4
	s_ashr_i32 s5, s41, 31
	s_mov_b32 s4, s41
	s_ashr_i32 s47, s46, 31
	s_ashr_i32 s41, s40, 31
	s_and_b32 s15, s2, 30
	s_bitcmp0_b32 s33, 0
	s_cselect_b64 s[34:35], -1, 0
	s_ashr_i32 s43, s42, 31
	s_lshl_b64 s[36:37], s[4:5], 1
	s_lshl_b64 s[2:3], s[42:43], 1
	v_cmp_lt_u32_e32 vcc, 1, v0
	s_sub_u32 s33, 0, s2
	v_cndmask_b32_e64 v0, 0, 1, vcc
	v_cndmask_b32_e64 v4, 0, 1, s[0:1]
	s_mov_b64 s[38:39], 0
	s_subb_u32 s44, 0, s3
	s_lshl_b64 s[40:41], s[40:41], 1
	s_lshl_b64 s[42:43], s[46:47], 1
	s_movk_i32 s45, 0x7fff
	v_cmp_ne_u32_e64 s[0:1], 1, v0
	v_cmp_ne_u32_e64 s[2:3], 1, v4
	v_mov_b32_e32 v8, 0x7fc00000
	v_mov_b32_e32 v9, 0x7fc0
	;; [unrolled: 1-line block ×3, first 2 shown]
	s_branch .LBB21_3
.LBB21_2:                               ;   in Loop: Header=BB21_3 Depth=1
	v_mov_b32_e32 v7, v1
	v_lshlrev_b64 v[5:6], 1, v[6:7]
	v_mov_b32_e32 v7, s19
	v_add_co_u32_e32 v11, vcc, s18, v5
	v_mov_b32_e32 v5, v1
	v_lshlrev_b64 v[4:5], 1, v[4:5]
	v_addc_co_u32_e32 v12, vcc, v7, v6, vcc
	v_mov_b32_e32 v6, s27
	v_add_co_u32_e32 v4, vcc, s26, v4
	v_addc_co_u32_e32 v5, vcc, v6, v5, vcc
	v_mov_b32_e32 v16, s37
	v_add_co_u32_e32 v6, vcc, s36, v11
	;; [unrolled: 3-line block ×3, first 2 shown]
	v_addc_co_u32_e32 v14, vcc, v5, v14, vcc
	v_add_co_u32_e32 v15, vcc, s36, v6
	global_load_ushort v17, v[13:14], off
	v_addc_co_u32_e32 v16, vcc, v7, v16, vcc
	v_mov_b32_e32 v18, s44
	global_load_ushort v19, v[4:5], off
	global_load_ushort v20, v[11:12], off
	v_add_co_u32_e32 v4, vcc, s33, v13
	v_addc_co_u32_e32 v5, vcc, v14, v18, vcc
	global_load_ushort v11, v[6:7], off
	global_load_ushort v12, v[15:16], off
	;; [unrolled: 1-line block ×3, first 2 shown]
	v_lshlrev_b64 v[4:5], 1, v[0:1]
	v_mov_b32_e32 v0, s17
	v_add_co_u32_e32 v4, vcc, s16, v4
	v_addc_co_u32_e32 v5, vcc, v0, v5, vcc
	s_waitcnt vmcnt(5)
	v_lshlrev_b32_e32 v7, 16, v17
	s_waitcnt vmcnt(4)
	v_lshlrev_b32_e32 v6, 16, v19
	;; [unrolled: 2-line block ×4, first 2 shown]
	v_mul_f32_e32 v14, v11, v7
	s_waitcnt vmcnt(1)
	v_lshlrev_b32_e32 v12, 16, v12
	s_waitcnt vmcnt(0)
	v_lshlrev_b32_e32 v13, 16, v13
	v_mul_f32_e32 v7, v0, v7
	v_bfe_u32 v15, v14, 16, 1
	v_mul_f32_e32 v11, v11, v6
	v_mul_f32_e32 v16, v13, v12
	;; [unrolled: 1-line block ×3, first 2 shown]
	v_bfe_u32 v12, v7, 16, 1
	v_add3_u32 v15, v14, v15, s45
	v_mul_f32_e32 v0, v13, v0
	v_and_b32_sdwa v13, v11, v10 dst_sel:DWORD dst_unused:UNUSED_PAD src0_sel:WORD_1 src1_sel:DWORD
	v_add3_u32 v12, v7, v12, s45
	v_and_b32_e32 v15, 0xffff0000, v15
	v_cmp_o_f32_e32 vcc, v14, v14
	v_bfe_u32 v17, v16, 16, 1
	v_add3_u32 v13, v11, v13, s45
	v_and_b32_e32 v12, 0xffff0000, v12
	v_cndmask_b32_e32 v15, v8, v15, vcc
	v_cmp_o_f32_e32 vcc, v7, v7
	v_bfe_u32 v18, v6, 16, 1
	v_add3_u32 v17, v16, v17, s45
	v_and_b32_e32 v13, 0xffff0000, v13
	v_cndmask_b32_e32 v7, v8, v12, vcc
	v_cmp_o_f32_e32 vcc, v11, v11
	v_add3_u32 v18, v6, v18, s45
	v_and_b32_e32 v17, 0xffff0000, v17
	v_cndmask_b32_e32 v11, v8, v13, vcc
	v_cmp_o_f32_e32 vcc, v16, v16
	v_and_b32_e32 v18, 0xffff0000, v18
	v_cndmask_b32_e32 v13, v8, v17, vcc
	v_cmp_o_f32_e32 vcc, v6, v6
	v_and_b32_sdwa v14, v0, v10 dst_sel:DWORD dst_unused:UNUSED_PAD src0_sel:WORD_1 src1_sel:DWORD
	v_cndmask_b32_e32 v6, v8, v18, vcc
	v_sub_f32_e32 v13, v15, v13
	v_add3_u32 v14, v0, v14, s45
	v_sub_f32_e32 v6, v6, v7
	v_bfe_u32 v7, v13, 16, 1
	v_and_b32_e32 v12, 0xffff0000, v14
	v_bfe_u32 v14, v6, 16, 1
	v_add3_u32 v7, v13, v7, s45
	v_add3_u32 v14, v6, v14, s45
	v_lshrrev_b32_e32 v7, 16, v7
	v_cmp_o_f32_e32 vcc, v13, v13
	v_lshrrev_b32_e32 v14, 16, v14
	v_cndmask_b32_e32 v7, v9, v7, vcc
	v_cmp_o_f32_e32 vcc, v6, v6
	v_cndmask_b32_e32 v6, v9, v14, vcc
	v_cmp_o_f32_e32 vcc, v0, v0
	v_cndmask_b32_e32 v0, v8, v12, vcc
	v_sub_f32_e32 v0, v0, v11
	v_bfe_u32 v11, v0, 16, 1
	v_add3_u32 v11, v0, v11, s45
	v_lshrrev_b32_e32 v11, 16, v11
	v_cmp_o_f32_e32 vcc, v0, v0
	v_cndmask_b32_e32 v0, v9, v11, vcc
	global_store_short v[4:5], v7, off
	v_mov_b32_e32 v7, s41
	v_add_co_u32_e32 v4, vcc, s40, v4
	v_addc_co_u32_e32 v5, vcc, v5, v7, vcc
	v_add_co_u32_e32 v2, vcc, s13, v2
	v_addc_co_u32_e32 v3, vcc, 0, v3, vcc
	v_cmp_le_i64_e32 vcc, s[24:25], v[2:3]
	global_store_short v[4:5], v6, off
	v_add_co_u32_e64 v4, s[4:5], s40, v4
	v_addc_co_u32_e64 v5, s[4:5], v5, v7, s[4:5]
	s_or_b64 s[38:39], vcc, s[38:39]
	global_store_short v[4:5], v0, off
	s_andn2_b64 exec, exec, s[38:39]
	s_cbranch_execz .LBB21_13
.LBB21_3:                               ; =>This Loop Header: Depth=1
                                        ;     Child Loop BB21_6 Depth 2
	s_and_b64 vcc, exec, s[0:1]
	s_mov_b64 s[4:5], -1
                                        ; implicit-def: $vgpr6
                                        ; implicit-def: $vgpr4
	s_cbranch_vccnz .LBB21_10
; %bb.4:                                ;   in Loop: Header=BB21_3 Depth=1
	v_mov_b32_e32 v0, 0
	s_and_b64 vcc, exec, s[2:3]
	v_mov_b32_e32 v6, 0
	v_mov_b32_e32 v4, 0
	s_cbranch_vccnz .LBB21_9
; %bb.5:                                ;   in Loop: Header=BB21_3 Depth=1
	v_mov_b32_e32 v4, 0
	s_mov_b32 s46, s15
	s_mov_b64 s[4:5], s[6:7]
	v_mov_b32_e32 v6, 0
	v_mov_b32_e32 v0, v4
	;; [unrolled: 1-line block ×3, first 2 shown]
.LBB21_6:                               ;   Parent Loop BB21_3 Depth=1
                                        ; =>  This Inner Loop Header: Depth=2
	s_load_dwordx4 s[48:51], s[4:5], 0x1c
	s_load_dwordx2 s[56:57], s[4:5], 0x2c
	s_load_dwordx2 s[58:59], s[4:5], 0xec
	s_load_dwordx4 s[52:55], s[4:5], 0xdc
	s_add_u32 s4, s4, 24
	s_waitcnt lgkmcnt(0)
	v_mul_hi_u32 v7, s49, v5
	s_addc_u32 s5, s5, 0
	s_add_i32 s46, s46, -2
	s_cmp_lg_u32 s46, 0
	v_add_u32_e32 v7, v5, v7
	v_lshrrev_b32_e32 v7, s50, v7
	v_mul_lo_u32 v11, v7, s48
	v_mul_hi_u32 v12, s56, v7
	v_sub_u32_e32 v11, v5, v11
	v_add_u32_e32 v5, v7, v12
	v_lshrrev_b32_e32 v5, s57, v5
	v_mul_lo_u32 v14, v5, s51
	v_mul_lo_u32 v12, v11, s52
	;; [unrolled: 1-line block ×4, first 2 shown]
	v_sub_u32_e32 v7, v7, v14
	v_mul_lo_u32 v14, v7, s55
	v_mul_lo_u32 v15, v7, s58
	;; [unrolled: 1-line block ×3, first 2 shown]
	v_add3_u32 v0, v12, v0, v14
	v_add3_u32 v6, v13, v6, v15
	;; [unrolled: 1-line block ×3, first 2 shown]
	s_cbranch_scc1 .LBB21_6
; %bb.7:                                ;   in Loop: Header=BB21_3 Depth=1
	s_andn2_b64 vcc, exec, s[34:35]
	s_cbranch_vccnz .LBB21_9
; %bb.8:                                ;   in Loop: Header=BB21_3 Depth=1
	s_load_dwordx2 s[46:47], s[4:5], 0x1c
	s_load_dword s50, s[4:5], 0x24
	s_load_dwordx2 s[48:49], s[4:5], 0xdc
	s_waitcnt lgkmcnt(0)
	v_mul_hi_u32 v7, s47, v5
	v_add_u32_e32 v7, v5, v7
	v_lshrrev_b32_e32 v7, s50, v7
	v_mul_lo_u32 v7, v7, s46
	s_load_dword s46, s[4:5], 0xe4
	v_sub_u32_e32 v5, v5, v7
	v_mad_u64_u32 v[11:12], s[4:5], v5, s48, v[0:1]
	v_mad_u64_u32 v[6:7], s[4:5], v5, s49, v[6:7]
	s_waitcnt lgkmcnt(0)
	v_mad_u64_u32 v[4:5], s[4:5], v5, s46, v[4:5]
	v_mov_b32_e32 v0, v11
.LBB21_9:                               ;   in Loop: Header=BB21_3 Depth=1
	s_mov_b64 s[4:5], 0
.LBB21_10:                              ;   in Loop: Header=BB21_3 Depth=1
	s_andn2_b64 vcc, exec, s[4:5]
	s_cbranch_vccnz .LBB21_2
; %bb.11:                               ;   in Loop: Header=BB21_3 Depth=1
	v_mul_lo_u32 v0, v3, s10
	v_mul_hi_u32 v4, v2, s10
	s_andn2_b64 vcc, exec, s[30:31]
	v_add3_u32 v0, v4, v0, v2
	v_lshrrev_b32_e32 v5, s11, v0
	v_mul_lo_u32 v0, v5, s9
	v_sub_u32_e32 v4, v2, v0
	s_waitcnt lgkmcnt(0)
	v_mul_lo_u32 v0, v4, s20
	v_mul_lo_u32 v6, v4, s21
	;; [unrolled: 1-line block ×3, first 2 shown]
	s_cbranch_vccnz .LBB21_2
; %bb.12:                               ;   in Loop: Header=BB21_3 Depth=1
	v_mul_hi_u32 v7, s8, v5
	v_add_u32_e32 v7, v5, v7
	v_lshrrev_b32_e32 v7, s14, v7
	v_mul_lo_u32 v7, v7, s12
	v_sub_u32_e32 v5, v5, v7
	v_mad_u64_u32 v[11:12], s[4:5], v5, s23, v[0:1]
	v_mad_u64_u32 v[6:7], s[4:5], v5, s28, v[6:7]
	;; [unrolled: 1-line block ×3, first 2 shown]
	v_mov_b32_e32 v0, v11
	s_branch .LBB21_2
.LBB21_13:
	s_endpgm
	.section	.rodata,"a",@progbits
	.p2align	6, 0x0
	.amdhsa_kernel _ZN2at6native12cross_kernelIN3c108BFloat16E16OffsetCalculatorILi3EjLb0EEiEEviPT_PKS6_S9_T0_T1_SB_SB_
		.amdhsa_group_segment_fixed_size 0
		.amdhsa_private_segment_fixed_size 0
		.amdhsa_kernarg_size 688
		.amdhsa_user_sgpr_count 6
		.amdhsa_user_sgpr_private_segment_buffer 1
		.amdhsa_user_sgpr_dispatch_ptr 0
		.amdhsa_user_sgpr_queue_ptr 0
		.amdhsa_user_sgpr_kernarg_segment_ptr 1
		.amdhsa_user_sgpr_dispatch_id 0
		.amdhsa_user_sgpr_flat_scratch_init 0
		.amdhsa_user_sgpr_private_segment_size 0
		.amdhsa_uses_dynamic_stack 0
		.amdhsa_system_sgpr_private_segment_wavefront_offset 0
		.amdhsa_system_sgpr_workgroup_id_x 1
		.amdhsa_system_sgpr_workgroup_id_y 0
		.amdhsa_system_sgpr_workgroup_id_z 0
		.amdhsa_system_sgpr_workgroup_info 0
		.amdhsa_system_vgpr_workitem_id 0
		.amdhsa_next_free_vgpr 21
		.amdhsa_next_free_sgpr 60
		.amdhsa_reserve_vcc 1
		.amdhsa_reserve_flat_scratch 0
		.amdhsa_float_round_mode_32 0
		.amdhsa_float_round_mode_16_64 0
		.amdhsa_float_denorm_mode_32 3
		.amdhsa_float_denorm_mode_16_64 3
		.amdhsa_dx10_clamp 1
		.amdhsa_ieee_mode 1
		.amdhsa_fp16_overflow 0
		.amdhsa_exception_fp_ieee_invalid_op 0
		.amdhsa_exception_fp_denorm_src 0
		.amdhsa_exception_fp_ieee_div_zero 0
		.amdhsa_exception_fp_ieee_overflow 0
		.amdhsa_exception_fp_ieee_underflow 0
		.amdhsa_exception_fp_ieee_inexact 0
		.amdhsa_exception_int_div_zero 0
	.end_amdhsa_kernel
	.section	.text._ZN2at6native12cross_kernelIN3c108BFloat16E16OffsetCalculatorILi3EjLb0EEiEEviPT_PKS6_S9_T0_T1_SB_SB_,"axG",@progbits,_ZN2at6native12cross_kernelIN3c108BFloat16E16OffsetCalculatorILi3EjLb0EEiEEviPT_PKS6_S9_T0_T1_SB_SB_,comdat
.Lfunc_end21:
	.size	_ZN2at6native12cross_kernelIN3c108BFloat16E16OffsetCalculatorILi3EjLb0EEiEEviPT_PKS6_S9_T0_T1_SB_SB_, .Lfunc_end21-_ZN2at6native12cross_kernelIN3c108BFloat16E16OffsetCalculatorILi3EjLb0EEiEEviPT_PKS6_S9_T0_T1_SB_SB_
                                        ; -- End function
	.set _ZN2at6native12cross_kernelIN3c108BFloat16E16OffsetCalculatorILi3EjLb0EEiEEviPT_PKS6_S9_T0_T1_SB_SB_.num_vgpr, 21
	.set _ZN2at6native12cross_kernelIN3c108BFloat16E16OffsetCalculatorILi3EjLb0EEiEEviPT_PKS6_S9_T0_T1_SB_SB_.num_agpr, 0
	.set _ZN2at6native12cross_kernelIN3c108BFloat16E16OffsetCalculatorILi3EjLb0EEiEEviPT_PKS6_S9_T0_T1_SB_SB_.numbered_sgpr, 60
	.set _ZN2at6native12cross_kernelIN3c108BFloat16E16OffsetCalculatorILi3EjLb0EEiEEviPT_PKS6_S9_T0_T1_SB_SB_.num_named_barrier, 0
	.set _ZN2at6native12cross_kernelIN3c108BFloat16E16OffsetCalculatorILi3EjLb0EEiEEviPT_PKS6_S9_T0_T1_SB_SB_.private_seg_size, 0
	.set _ZN2at6native12cross_kernelIN3c108BFloat16E16OffsetCalculatorILi3EjLb0EEiEEviPT_PKS6_S9_T0_T1_SB_SB_.uses_vcc, 1
	.set _ZN2at6native12cross_kernelIN3c108BFloat16E16OffsetCalculatorILi3EjLb0EEiEEviPT_PKS6_S9_T0_T1_SB_SB_.uses_flat_scratch, 0
	.set _ZN2at6native12cross_kernelIN3c108BFloat16E16OffsetCalculatorILi3EjLb0EEiEEviPT_PKS6_S9_T0_T1_SB_SB_.has_dyn_sized_stack, 0
	.set _ZN2at6native12cross_kernelIN3c108BFloat16E16OffsetCalculatorILi3EjLb0EEiEEviPT_PKS6_S9_T0_T1_SB_SB_.has_recursion, 0
	.set _ZN2at6native12cross_kernelIN3c108BFloat16E16OffsetCalculatorILi3EjLb0EEiEEviPT_PKS6_S9_T0_T1_SB_SB_.has_indirect_call, 0
	.section	.AMDGPU.csdata,"",@progbits
; Kernel info:
; codeLenInByte = 1400
; TotalNumSgprs: 64
; NumVgprs: 21
; ScratchSize: 0
; MemoryBound: 0
; FloatMode: 240
; IeeeMode: 1
; LDSByteSize: 0 bytes/workgroup (compile time only)
; SGPRBlocks: 7
; VGPRBlocks: 5
; NumSGPRsForWavesPerEU: 64
; NumVGPRsForWavesPerEU: 21
; Occupancy: 10
; WaveLimiterHint : 1
; COMPUTE_PGM_RSRC2:SCRATCH_EN: 0
; COMPUTE_PGM_RSRC2:USER_SGPR: 6
; COMPUTE_PGM_RSRC2:TRAP_HANDLER: 0
; COMPUTE_PGM_RSRC2:TGID_X_EN: 1
; COMPUTE_PGM_RSRC2:TGID_Y_EN: 0
; COMPUTE_PGM_RSRC2:TGID_Z_EN: 0
; COMPUTE_PGM_RSRC2:TIDIG_COMP_CNT: 0
	.section	.AMDGPU.gpr_maximums,"",@progbits
	.set amdgpu.max_num_vgpr, 0
	.set amdgpu.max_num_agpr, 0
	.set amdgpu.max_num_sgpr, 0
	.section	.AMDGPU.csdata,"",@progbits
	.type	__hip_cuid_a9b03bef910234a6,@object ; @__hip_cuid_a9b03bef910234a6
	.section	.bss,"aw",@nobits
	.globl	__hip_cuid_a9b03bef910234a6
__hip_cuid_a9b03bef910234a6:
	.byte	0                               ; 0x0
	.size	__hip_cuid_a9b03bef910234a6, 1

	.ident	"AMD clang version 22.0.0git (https://github.com/RadeonOpenCompute/llvm-project roc-7.2.4 26084 f58b06dce1f9c15707c5f808fd002e18c2accf7e)"
	.section	".note.GNU-stack","",@progbits
	.addrsig
	.addrsig_sym __hip_cuid_a9b03bef910234a6
	.amdgpu_metadata
---
amdhsa.kernels:
  - .args:
      - .offset:         0
        .size:           4
        .value_kind:     by_value
      - .address_space:  global
        .offset:         8
        .size:           8
        .value_kind:     global_buffer
      - .address_space:  global
        .offset:         16
        .size:           8
        .value_kind:     global_buffer
      - .address_space:  global
        .offset:         24
        .size:           8
        .value_kind:     global_buffer
      - .offset:         32
        .size:           388
        .value_kind:     by_value
      - .offset:         424
        .size:           8
        .value_kind:     by_value
      - .offset:         432
        .size:           8
        .value_kind:     by_value
      - .offset:         440
        .size:           8
        .value_kind:     by_value
      - .offset:         448
        .size:           4
        .value_kind:     hidden_block_count_x
      - .offset:         452
        .size:           4
        .value_kind:     hidden_block_count_y
      - .offset:         456
        .size:           4
        .value_kind:     hidden_block_count_z
      - .offset:         460
        .size:           2
        .value_kind:     hidden_group_size_x
      - .offset:         462
        .size:           2
        .value_kind:     hidden_group_size_y
      - .offset:         464
        .size:           2
        .value_kind:     hidden_group_size_z
      - .offset:         466
        .size:           2
        .value_kind:     hidden_remainder_x
      - .offset:         468
        .size:           2
        .value_kind:     hidden_remainder_y
      - .offset:         470
        .size:           2
        .value_kind:     hidden_remainder_z
      - .offset:         488
        .size:           8
        .value_kind:     hidden_global_offset_x
      - .offset:         496
        .size:           8
        .value_kind:     hidden_global_offset_y
      - .offset:         504
        .size:           8
        .value_kind:     hidden_global_offset_z
      - .offset:         512
        .size:           2
        .value_kind:     hidden_grid_dims
    .group_segment_fixed_size: 0
    .kernarg_segment_align: 8
    .kernarg_segment_size: 704
    .language:       OpenCL C
    .language_version:
      - 2
      - 0
    .max_flat_workgroup_size: 1024
    .name:           _ZN2at6native12cross_kernelIh16OffsetCalculatorILi3EjLb0EElEEviPT_PKS4_S7_T0_T1_S9_S9_
    .private_segment_fixed_size: 0
    .sgpr_count:     62
    .sgpr_spill_count: 0
    .symbol:         _ZN2at6native12cross_kernelIh16OffsetCalculatorILi3EjLb0EElEEviPT_PKS4_S7_T0_T1_S9_S9_.kd
    .uniform_work_group_size: 1
    .uses_dynamic_stack: false
    .vgpr_count:     17
    .vgpr_spill_count: 0
    .wavefront_size: 64
  - .args:
      - .offset:         0
        .size:           4
        .value_kind:     by_value
      - .address_space:  global
        .offset:         8
        .size:           8
        .value_kind:     global_buffer
      - .address_space:  global
        .offset:         16
        .size:           8
        .value_kind:     global_buffer
      - .address_space:  global
        .offset:         24
        .size:           8
        .value_kind:     global_buffer
      - .offset:         32
        .size:           388
        .value_kind:     by_value
      - .offset:         420
        .size:           4
        .value_kind:     by_value
      - .offset:         424
        .size:           4
        .value_kind:     by_value
      - .offset:         428
        .size:           4
        .value_kind:     by_value
      - .offset:         432
        .size:           4
        .value_kind:     hidden_block_count_x
      - .offset:         436
        .size:           4
        .value_kind:     hidden_block_count_y
      - .offset:         440
        .size:           4
        .value_kind:     hidden_block_count_z
      - .offset:         444
        .size:           2
        .value_kind:     hidden_group_size_x
      - .offset:         446
        .size:           2
        .value_kind:     hidden_group_size_y
      - .offset:         448
        .size:           2
        .value_kind:     hidden_group_size_z
      - .offset:         450
        .size:           2
        .value_kind:     hidden_remainder_x
      - .offset:         452
        .size:           2
        .value_kind:     hidden_remainder_y
      - .offset:         454
        .size:           2
        .value_kind:     hidden_remainder_z
      - .offset:         472
        .size:           8
        .value_kind:     hidden_global_offset_x
      - .offset:         480
        .size:           8
        .value_kind:     hidden_global_offset_y
      - .offset:         488
        .size:           8
        .value_kind:     hidden_global_offset_z
      - .offset:         496
        .size:           2
        .value_kind:     hidden_grid_dims
    .group_segment_fixed_size: 0
    .kernarg_segment_align: 8
    .kernarg_segment_size: 688
    .language:       OpenCL C
    .language_version:
      - 2
      - 0
    .max_flat_workgroup_size: 1024
    .name:           _ZN2at6native12cross_kernelIh16OffsetCalculatorILi3EjLb0EEiEEviPT_PKS4_S7_T0_T1_S9_S9_
    .private_segment_fixed_size: 0
    .sgpr_count:     64
    .sgpr_spill_count: 0
    .symbol:         _ZN2at6native12cross_kernelIh16OffsetCalculatorILi3EjLb0EEiEEviPT_PKS4_S7_T0_T1_S9_S9_.kd
    .uniform_work_group_size: 1
    .uses_dynamic_stack: false
    .vgpr_count:     17
    .vgpr_spill_count: 0
    .wavefront_size: 64
  - .args:
      - .offset:         0
        .size:           4
        .value_kind:     by_value
      - .address_space:  global
        .offset:         8
        .size:           8
        .value_kind:     global_buffer
      - .address_space:  global
        .offset:         16
        .size:           8
        .value_kind:     global_buffer
      - .address_space:  global
        .offset:         24
        .size:           8
        .value_kind:     global_buffer
      - .offset:         32
        .size:           388
        .value_kind:     by_value
      - .offset:         424
        .size:           8
        .value_kind:     by_value
      - .offset:         432
        .size:           8
        .value_kind:     by_value
      - .offset:         440
        .size:           8
        .value_kind:     by_value
      - .offset:         448
        .size:           4
        .value_kind:     hidden_block_count_x
      - .offset:         452
        .size:           4
        .value_kind:     hidden_block_count_y
      - .offset:         456
        .size:           4
        .value_kind:     hidden_block_count_z
      - .offset:         460
        .size:           2
        .value_kind:     hidden_group_size_x
      - .offset:         462
        .size:           2
        .value_kind:     hidden_group_size_y
      - .offset:         464
        .size:           2
        .value_kind:     hidden_group_size_z
      - .offset:         466
        .size:           2
        .value_kind:     hidden_remainder_x
      - .offset:         468
        .size:           2
        .value_kind:     hidden_remainder_y
      - .offset:         470
        .size:           2
        .value_kind:     hidden_remainder_z
      - .offset:         488
        .size:           8
        .value_kind:     hidden_global_offset_x
      - .offset:         496
        .size:           8
        .value_kind:     hidden_global_offset_y
      - .offset:         504
        .size:           8
        .value_kind:     hidden_global_offset_z
      - .offset:         512
        .size:           2
        .value_kind:     hidden_grid_dims
    .group_segment_fixed_size: 0
    .kernarg_segment_align: 8
    .kernarg_segment_size: 704
    .language:       OpenCL C
    .language_version:
      - 2
      - 0
    .max_flat_workgroup_size: 1024
    .name:           _ZN2at6native12cross_kernelIa16OffsetCalculatorILi3EjLb0EElEEviPT_PKS4_S7_T0_T1_S9_S9_
    .private_segment_fixed_size: 0
    .sgpr_count:     62
    .sgpr_spill_count: 0
    .symbol:         _ZN2at6native12cross_kernelIa16OffsetCalculatorILi3EjLb0EElEEviPT_PKS4_S7_T0_T1_S9_S9_.kd
    .uniform_work_group_size: 1
    .uses_dynamic_stack: false
    .vgpr_count:     17
    .vgpr_spill_count: 0
    .wavefront_size: 64
  - .args:
      - .offset:         0
        .size:           4
        .value_kind:     by_value
      - .address_space:  global
        .offset:         8
        .size:           8
        .value_kind:     global_buffer
      - .address_space:  global
        .offset:         16
        .size:           8
        .value_kind:     global_buffer
      - .address_space:  global
        .offset:         24
        .size:           8
        .value_kind:     global_buffer
      - .offset:         32
        .size:           388
        .value_kind:     by_value
      - .offset:         420
        .size:           4
        .value_kind:     by_value
      - .offset:         424
        .size:           4
        .value_kind:     by_value
      - .offset:         428
        .size:           4
        .value_kind:     by_value
      - .offset:         432
        .size:           4
        .value_kind:     hidden_block_count_x
      - .offset:         436
        .size:           4
        .value_kind:     hidden_block_count_y
      - .offset:         440
        .size:           4
        .value_kind:     hidden_block_count_z
      - .offset:         444
        .size:           2
        .value_kind:     hidden_group_size_x
      - .offset:         446
        .size:           2
        .value_kind:     hidden_group_size_y
      - .offset:         448
        .size:           2
        .value_kind:     hidden_group_size_z
      - .offset:         450
        .size:           2
        .value_kind:     hidden_remainder_x
      - .offset:         452
        .size:           2
        .value_kind:     hidden_remainder_y
      - .offset:         454
        .size:           2
        .value_kind:     hidden_remainder_z
      - .offset:         472
        .size:           8
        .value_kind:     hidden_global_offset_x
      - .offset:         480
        .size:           8
        .value_kind:     hidden_global_offset_y
      - .offset:         488
        .size:           8
        .value_kind:     hidden_global_offset_z
      - .offset:         496
        .size:           2
        .value_kind:     hidden_grid_dims
    .group_segment_fixed_size: 0
    .kernarg_segment_align: 8
    .kernarg_segment_size: 688
    .language:       OpenCL C
    .language_version:
      - 2
      - 0
    .max_flat_workgroup_size: 1024
    .name:           _ZN2at6native12cross_kernelIa16OffsetCalculatorILi3EjLb0EEiEEviPT_PKS4_S7_T0_T1_S9_S9_
    .private_segment_fixed_size: 0
    .sgpr_count:     64
    .sgpr_spill_count: 0
    .symbol:         _ZN2at6native12cross_kernelIa16OffsetCalculatorILi3EjLb0EEiEEviPT_PKS4_S7_T0_T1_S9_S9_.kd
    .uniform_work_group_size: 1
    .uses_dynamic_stack: false
    .vgpr_count:     17
    .vgpr_spill_count: 0
    .wavefront_size: 64
  - .args:
      - .offset:         0
        .size:           4
        .value_kind:     by_value
      - .address_space:  global
        .offset:         8
        .size:           8
        .value_kind:     global_buffer
      - .address_space:  global
        .offset:         16
        .size:           8
        .value_kind:     global_buffer
      - .address_space:  global
        .offset:         24
        .size:           8
        .value_kind:     global_buffer
      - .offset:         32
        .size:           388
        .value_kind:     by_value
      - .offset:         424
        .size:           8
        .value_kind:     by_value
      - .offset:         432
        .size:           8
        .value_kind:     by_value
      - .offset:         440
        .size:           8
        .value_kind:     by_value
      - .offset:         448
        .size:           4
        .value_kind:     hidden_block_count_x
      - .offset:         452
        .size:           4
        .value_kind:     hidden_block_count_y
      - .offset:         456
        .size:           4
        .value_kind:     hidden_block_count_z
      - .offset:         460
        .size:           2
        .value_kind:     hidden_group_size_x
      - .offset:         462
        .size:           2
        .value_kind:     hidden_group_size_y
      - .offset:         464
        .size:           2
        .value_kind:     hidden_group_size_z
      - .offset:         466
        .size:           2
        .value_kind:     hidden_remainder_x
      - .offset:         468
        .size:           2
        .value_kind:     hidden_remainder_y
      - .offset:         470
        .size:           2
        .value_kind:     hidden_remainder_z
      - .offset:         488
        .size:           8
        .value_kind:     hidden_global_offset_x
      - .offset:         496
        .size:           8
        .value_kind:     hidden_global_offset_y
      - .offset:         504
        .size:           8
        .value_kind:     hidden_global_offset_z
      - .offset:         512
        .size:           2
        .value_kind:     hidden_grid_dims
    .group_segment_fixed_size: 0
    .kernarg_segment_align: 8
    .kernarg_segment_size: 704
    .language:       OpenCL C
    .language_version:
      - 2
      - 0
    .max_flat_workgroup_size: 1024
    .name:           _ZN2at6native12cross_kernelIi16OffsetCalculatorILi3EjLb0EElEEviPT_PKS4_S7_T0_T1_S9_S9_
    .private_segment_fixed_size: 0
    .sgpr_count:     62
    .sgpr_spill_count: 0
    .symbol:         _ZN2at6native12cross_kernelIi16OffsetCalculatorILi3EjLb0EElEEviPT_PKS4_S7_T0_T1_S9_S9_.kd
    .uniform_work_group_size: 1
    .uses_dynamic_stack: false
    .vgpr_count:     17
    .vgpr_spill_count: 0
    .wavefront_size: 64
  - .args:
      - .offset:         0
        .size:           4
        .value_kind:     by_value
      - .address_space:  global
        .offset:         8
        .size:           8
        .value_kind:     global_buffer
      - .address_space:  global
        .offset:         16
        .size:           8
        .value_kind:     global_buffer
      - .address_space:  global
        .offset:         24
        .size:           8
        .value_kind:     global_buffer
      - .offset:         32
        .size:           388
        .value_kind:     by_value
      - .offset:         420
        .size:           4
        .value_kind:     by_value
      - .offset:         424
        .size:           4
        .value_kind:     by_value
      - .offset:         428
        .size:           4
        .value_kind:     by_value
      - .offset:         432
        .size:           4
        .value_kind:     hidden_block_count_x
      - .offset:         436
        .size:           4
        .value_kind:     hidden_block_count_y
      - .offset:         440
        .size:           4
        .value_kind:     hidden_block_count_z
      - .offset:         444
        .size:           2
        .value_kind:     hidden_group_size_x
      - .offset:         446
        .size:           2
        .value_kind:     hidden_group_size_y
      - .offset:         448
        .size:           2
        .value_kind:     hidden_group_size_z
      - .offset:         450
        .size:           2
        .value_kind:     hidden_remainder_x
      - .offset:         452
        .size:           2
        .value_kind:     hidden_remainder_y
      - .offset:         454
        .size:           2
        .value_kind:     hidden_remainder_z
      - .offset:         472
        .size:           8
        .value_kind:     hidden_global_offset_x
      - .offset:         480
        .size:           8
        .value_kind:     hidden_global_offset_y
      - .offset:         488
        .size:           8
        .value_kind:     hidden_global_offset_z
      - .offset:         496
        .size:           2
        .value_kind:     hidden_grid_dims
    .group_segment_fixed_size: 0
    .kernarg_segment_align: 8
    .kernarg_segment_size: 688
    .language:       OpenCL C
    .language_version:
      - 2
      - 0
    .max_flat_workgroup_size: 1024
    .name:           _ZN2at6native12cross_kernelIi16OffsetCalculatorILi3EjLb0EEiEEviPT_PKS4_S7_T0_T1_S9_S9_
    .private_segment_fixed_size: 0
    .sgpr_count:     62
    .sgpr_spill_count: 0
    .symbol:         _ZN2at6native12cross_kernelIi16OffsetCalculatorILi3EjLb0EEiEEviPT_PKS4_S7_T0_T1_S9_S9_.kd
    .uniform_work_group_size: 1
    .uses_dynamic_stack: false
    .vgpr_count:     17
    .vgpr_spill_count: 0
    .wavefront_size: 64
  - .args:
      - .offset:         0
        .size:           4
        .value_kind:     by_value
      - .address_space:  global
        .offset:         8
        .size:           8
        .value_kind:     global_buffer
      - .address_space:  global
        .offset:         16
        .size:           8
        .value_kind:     global_buffer
      - .address_space:  global
        .offset:         24
        .size:           8
        .value_kind:     global_buffer
      - .offset:         32
        .size:           388
        .value_kind:     by_value
      - .offset:         424
        .size:           8
        .value_kind:     by_value
      - .offset:         432
        .size:           8
        .value_kind:     by_value
      - .offset:         440
        .size:           8
        .value_kind:     by_value
      - .offset:         448
        .size:           4
        .value_kind:     hidden_block_count_x
      - .offset:         452
        .size:           4
        .value_kind:     hidden_block_count_y
      - .offset:         456
        .size:           4
        .value_kind:     hidden_block_count_z
      - .offset:         460
        .size:           2
        .value_kind:     hidden_group_size_x
      - .offset:         462
        .size:           2
        .value_kind:     hidden_group_size_y
      - .offset:         464
        .size:           2
        .value_kind:     hidden_group_size_z
      - .offset:         466
        .size:           2
        .value_kind:     hidden_remainder_x
      - .offset:         468
        .size:           2
        .value_kind:     hidden_remainder_y
      - .offset:         470
        .size:           2
        .value_kind:     hidden_remainder_z
      - .offset:         488
        .size:           8
        .value_kind:     hidden_global_offset_x
      - .offset:         496
        .size:           8
        .value_kind:     hidden_global_offset_y
      - .offset:         504
        .size:           8
        .value_kind:     hidden_global_offset_z
      - .offset:         512
        .size:           2
        .value_kind:     hidden_grid_dims
    .group_segment_fixed_size: 0
    .kernarg_segment_align: 8
    .kernarg_segment_size: 704
    .language:       OpenCL C
    .language_version:
      - 2
      - 0
    .max_flat_workgroup_size: 1024
    .name:           _ZN2at6native12cross_kernelIl16OffsetCalculatorILi3EjLb0EElEEviPT_PKS4_S7_T0_T1_S9_S9_
    .private_segment_fixed_size: 0
    .sgpr_count:     62
    .sgpr_spill_count: 0
    .symbol:         _ZN2at6native12cross_kernelIl16OffsetCalculatorILi3EjLb0EElEEviPT_PKS4_S7_T0_T1_S9_S9_.kd
    .uniform_work_group_size: 1
    .uses_dynamic_stack: false
    .vgpr_count:     30
    .vgpr_spill_count: 0
    .wavefront_size: 64
  - .args:
      - .offset:         0
        .size:           4
        .value_kind:     by_value
      - .address_space:  global
        .offset:         8
        .size:           8
        .value_kind:     global_buffer
      - .address_space:  global
        .offset:         16
        .size:           8
        .value_kind:     global_buffer
      - .address_space:  global
        .offset:         24
        .size:           8
        .value_kind:     global_buffer
      - .offset:         32
        .size:           388
        .value_kind:     by_value
      - .offset:         420
        .size:           4
        .value_kind:     by_value
      - .offset:         424
        .size:           4
        .value_kind:     by_value
      - .offset:         428
        .size:           4
        .value_kind:     by_value
      - .offset:         432
        .size:           4
        .value_kind:     hidden_block_count_x
      - .offset:         436
        .size:           4
        .value_kind:     hidden_block_count_y
      - .offset:         440
        .size:           4
        .value_kind:     hidden_block_count_z
      - .offset:         444
        .size:           2
        .value_kind:     hidden_group_size_x
      - .offset:         446
        .size:           2
        .value_kind:     hidden_group_size_y
      - .offset:         448
        .size:           2
        .value_kind:     hidden_group_size_z
      - .offset:         450
        .size:           2
        .value_kind:     hidden_remainder_x
      - .offset:         452
        .size:           2
        .value_kind:     hidden_remainder_y
      - .offset:         454
        .size:           2
        .value_kind:     hidden_remainder_z
      - .offset:         472
        .size:           8
        .value_kind:     hidden_global_offset_x
      - .offset:         480
        .size:           8
        .value_kind:     hidden_global_offset_y
      - .offset:         488
        .size:           8
        .value_kind:     hidden_global_offset_z
      - .offset:         496
        .size:           2
        .value_kind:     hidden_grid_dims
    .group_segment_fixed_size: 0
    .kernarg_segment_align: 8
    .kernarg_segment_size: 688
    .language:       OpenCL C
    .language_version:
      - 2
      - 0
    .max_flat_workgroup_size: 1024
    .name:           _ZN2at6native12cross_kernelIl16OffsetCalculatorILi3EjLb0EEiEEviPT_PKS4_S7_T0_T1_S9_S9_
    .private_segment_fixed_size: 0
    .sgpr_count:     62
    .sgpr_spill_count: 0
    .symbol:         _ZN2at6native12cross_kernelIl16OffsetCalculatorILi3EjLb0EEiEEviPT_PKS4_S7_T0_T1_S9_S9_.kd
    .uniform_work_group_size: 1
    .uses_dynamic_stack: false
    .vgpr_count:     30
    .vgpr_spill_count: 0
    .wavefront_size: 64
  - .args:
      - .offset:         0
        .size:           4
        .value_kind:     by_value
      - .address_space:  global
        .offset:         8
        .size:           8
        .value_kind:     global_buffer
      - .address_space:  global
        .offset:         16
        .size:           8
        .value_kind:     global_buffer
      - .address_space:  global
        .offset:         24
        .size:           8
        .value_kind:     global_buffer
      - .offset:         32
        .size:           388
        .value_kind:     by_value
      - .offset:         424
        .size:           8
        .value_kind:     by_value
      - .offset:         432
        .size:           8
        .value_kind:     by_value
      - .offset:         440
        .size:           8
        .value_kind:     by_value
      - .offset:         448
        .size:           4
        .value_kind:     hidden_block_count_x
      - .offset:         452
        .size:           4
        .value_kind:     hidden_block_count_y
      - .offset:         456
        .size:           4
        .value_kind:     hidden_block_count_z
      - .offset:         460
        .size:           2
        .value_kind:     hidden_group_size_x
      - .offset:         462
        .size:           2
        .value_kind:     hidden_group_size_y
      - .offset:         464
        .size:           2
        .value_kind:     hidden_group_size_z
      - .offset:         466
        .size:           2
        .value_kind:     hidden_remainder_x
      - .offset:         468
        .size:           2
        .value_kind:     hidden_remainder_y
      - .offset:         470
        .size:           2
        .value_kind:     hidden_remainder_z
      - .offset:         488
        .size:           8
        .value_kind:     hidden_global_offset_x
      - .offset:         496
        .size:           8
        .value_kind:     hidden_global_offset_y
      - .offset:         504
        .size:           8
        .value_kind:     hidden_global_offset_z
      - .offset:         512
        .size:           2
        .value_kind:     hidden_grid_dims
    .group_segment_fixed_size: 0
    .kernarg_segment_align: 8
    .kernarg_segment_size: 704
    .language:       OpenCL C
    .language_version:
      - 2
      - 0
    .max_flat_workgroup_size: 1024
    .name:           _ZN2at6native12cross_kernelIs16OffsetCalculatorILi3EjLb0EElEEviPT_PKS4_S7_T0_T1_S9_S9_
    .private_segment_fixed_size: 0
    .sgpr_count:     62
    .sgpr_spill_count: 0
    .symbol:         _ZN2at6native12cross_kernelIs16OffsetCalculatorILi3EjLb0EElEEviPT_PKS4_S7_T0_T1_S9_S9_.kd
    .uniform_work_group_size: 1
    .uses_dynamic_stack: false
    .vgpr_count:     17
    .vgpr_spill_count: 0
    .wavefront_size: 64
  - .args:
      - .offset:         0
        .size:           4
        .value_kind:     by_value
      - .address_space:  global
        .offset:         8
        .size:           8
        .value_kind:     global_buffer
      - .address_space:  global
        .offset:         16
        .size:           8
        .value_kind:     global_buffer
      - .address_space:  global
        .offset:         24
        .size:           8
        .value_kind:     global_buffer
      - .offset:         32
        .size:           388
        .value_kind:     by_value
      - .offset:         420
        .size:           4
        .value_kind:     by_value
      - .offset:         424
        .size:           4
        .value_kind:     by_value
      - .offset:         428
        .size:           4
        .value_kind:     by_value
      - .offset:         432
        .size:           4
        .value_kind:     hidden_block_count_x
      - .offset:         436
        .size:           4
        .value_kind:     hidden_block_count_y
      - .offset:         440
        .size:           4
        .value_kind:     hidden_block_count_z
      - .offset:         444
        .size:           2
        .value_kind:     hidden_group_size_x
      - .offset:         446
        .size:           2
        .value_kind:     hidden_group_size_y
      - .offset:         448
        .size:           2
        .value_kind:     hidden_group_size_z
      - .offset:         450
        .size:           2
        .value_kind:     hidden_remainder_x
      - .offset:         452
        .size:           2
        .value_kind:     hidden_remainder_y
      - .offset:         454
        .size:           2
        .value_kind:     hidden_remainder_z
      - .offset:         472
        .size:           8
        .value_kind:     hidden_global_offset_x
      - .offset:         480
        .size:           8
        .value_kind:     hidden_global_offset_y
      - .offset:         488
        .size:           8
        .value_kind:     hidden_global_offset_z
      - .offset:         496
        .size:           2
        .value_kind:     hidden_grid_dims
    .group_segment_fixed_size: 0
    .kernarg_segment_align: 8
    .kernarg_segment_size: 688
    .language:       OpenCL C
    .language_version:
      - 2
      - 0
    .max_flat_workgroup_size: 1024
    .name:           _ZN2at6native12cross_kernelIs16OffsetCalculatorILi3EjLb0EEiEEviPT_PKS4_S7_T0_T1_S9_S9_
    .private_segment_fixed_size: 0
    .sgpr_count:     62
    .sgpr_spill_count: 0
    .symbol:         _ZN2at6native12cross_kernelIs16OffsetCalculatorILi3EjLb0EEiEEviPT_PKS4_S7_T0_T1_S9_S9_.kd
    .uniform_work_group_size: 1
    .uses_dynamic_stack: false
    .vgpr_count:     17
    .vgpr_spill_count: 0
    .wavefront_size: 64
  - .args:
      - .offset:         0
        .size:           4
        .value_kind:     by_value
      - .address_space:  global
        .offset:         8
        .size:           8
        .value_kind:     global_buffer
      - .address_space:  global
        .offset:         16
        .size:           8
        .value_kind:     global_buffer
      - .address_space:  global
        .offset:         24
        .size:           8
        .value_kind:     global_buffer
      - .offset:         32
        .size:           388
        .value_kind:     by_value
      - .offset:         424
        .size:           8
        .value_kind:     by_value
      - .offset:         432
        .size:           8
        .value_kind:     by_value
      - .offset:         440
        .size:           8
        .value_kind:     by_value
      - .offset:         448
        .size:           4
        .value_kind:     hidden_block_count_x
      - .offset:         452
        .size:           4
        .value_kind:     hidden_block_count_y
      - .offset:         456
        .size:           4
        .value_kind:     hidden_block_count_z
      - .offset:         460
        .size:           2
        .value_kind:     hidden_group_size_x
      - .offset:         462
        .size:           2
        .value_kind:     hidden_group_size_y
      - .offset:         464
        .size:           2
        .value_kind:     hidden_group_size_z
      - .offset:         466
        .size:           2
        .value_kind:     hidden_remainder_x
      - .offset:         468
        .size:           2
        .value_kind:     hidden_remainder_y
      - .offset:         470
        .size:           2
        .value_kind:     hidden_remainder_z
      - .offset:         488
        .size:           8
        .value_kind:     hidden_global_offset_x
      - .offset:         496
        .size:           8
        .value_kind:     hidden_global_offset_y
      - .offset:         504
        .size:           8
        .value_kind:     hidden_global_offset_z
      - .offset:         512
        .size:           2
        .value_kind:     hidden_grid_dims
    .group_segment_fixed_size: 0
    .kernarg_segment_align: 8
    .kernarg_segment_size: 704
    .language:       OpenCL C
    .language_version:
      - 2
      - 0
    .max_flat_workgroup_size: 1024
    .name:           _ZN2at6native12cross_kernelId16OffsetCalculatorILi3EjLb0EElEEviPT_PKS4_S7_T0_T1_S9_S9_
    .private_segment_fixed_size: 0
    .sgpr_count:     62
    .sgpr_spill_count: 0
    .symbol:         _ZN2at6native12cross_kernelId16OffsetCalculatorILi3EjLb0EElEEviPT_PKS4_S7_T0_T1_S9_S9_.kd
    .uniform_work_group_size: 1
    .uses_dynamic_stack: false
    .vgpr_count:     23
    .vgpr_spill_count: 0
    .wavefront_size: 64
  - .args:
      - .offset:         0
        .size:           4
        .value_kind:     by_value
      - .address_space:  global
        .offset:         8
        .size:           8
        .value_kind:     global_buffer
      - .address_space:  global
        .offset:         16
        .size:           8
        .value_kind:     global_buffer
      - .address_space:  global
        .offset:         24
        .size:           8
        .value_kind:     global_buffer
      - .offset:         32
        .size:           388
        .value_kind:     by_value
      - .offset:         420
        .size:           4
        .value_kind:     by_value
      - .offset:         424
        .size:           4
        .value_kind:     by_value
      - .offset:         428
        .size:           4
        .value_kind:     by_value
      - .offset:         432
        .size:           4
        .value_kind:     hidden_block_count_x
      - .offset:         436
        .size:           4
        .value_kind:     hidden_block_count_y
      - .offset:         440
        .size:           4
        .value_kind:     hidden_block_count_z
      - .offset:         444
        .size:           2
        .value_kind:     hidden_group_size_x
      - .offset:         446
        .size:           2
        .value_kind:     hidden_group_size_y
      - .offset:         448
        .size:           2
        .value_kind:     hidden_group_size_z
      - .offset:         450
        .size:           2
        .value_kind:     hidden_remainder_x
      - .offset:         452
        .size:           2
        .value_kind:     hidden_remainder_y
      - .offset:         454
        .size:           2
        .value_kind:     hidden_remainder_z
      - .offset:         472
        .size:           8
        .value_kind:     hidden_global_offset_x
      - .offset:         480
        .size:           8
        .value_kind:     hidden_global_offset_y
      - .offset:         488
        .size:           8
        .value_kind:     hidden_global_offset_z
      - .offset:         496
        .size:           2
        .value_kind:     hidden_grid_dims
    .group_segment_fixed_size: 0
    .kernarg_segment_align: 8
    .kernarg_segment_size: 688
    .language:       OpenCL C
    .language_version:
      - 2
      - 0
    .max_flat_workgroup_size: 1024
    .name:           _ZN2at6native12cross_kernelId16OffsetCalculatorILi3EjLb0EEiEEviPT_PKS4_S7_T0_T1_S9_S9_
    .private_segment_fixed_size: 0
    .sgpr_count:     62
    .sgpr_spill_count: 0
    .symbol:         _ZN2at6native12cross_kernelId16OffsetCalculatorILi3EjLb0EEiEEviPT_PKS4_S7_T0_T1_S9_S9_.kd
    .uniform_work_group_size: 1
    .uses_dynamic_stack: false
    .vgpr_count:     23
    .vgpr_spill_count: 0
    .wavefront_size: 64
  - .args:
      - .offset:         0
        .size:           4
        .value_kind:     by_value
      - .address_space:  global
        .offset:         8
        .size:           8
        .value_kind:     global_buffer
      - .address_space:  global
        .offset:         16
        .size:           8
        .value_kind:     global_buffer
      - .address_space:  global
        .offset:         24
        .size:           8
        .value_kind:     global_buffer
      - .offset:         32
        .size:           388
        .value_kind:     by_value
      - .offset:         424
        .size:           8
        .value_kind:     by_value
      - .offset:         432
        .size:           8
        .value_kind:     by_value
      - .offset:         440
        .size:           8
        .value_kind:     by_value
      - .offset:         448
        .size:           4
        .value_kind:     hidden_block_count_x
      - .offset:         452
        .size:           4
        .value_kind:     hidden_block_count_y
      - .offset:         456
        .size:           4
        .value_kind:     hidden_block_count_z
      - .offset:         460
        .size:           2
        .value_kind:     hidden_group_size_x
      - .offset:         462
        .size:           2
        .value_kind:     hidden_group_size_y
      - .offset:         464
        .size:           2
        .value_kind:     hidden_group_size_z
      - .offset:         466
        .size:           2
        .value_kind:     hidden_remainder_x
      - .offset:         468
        .size:           2
        .value_kind:     hidden_remainder_y
      - .offset:         470
        .size:           2
        .value_kind:     hidden_remainder_z
      - .offset:         488
        .size:           8
        .value_kind:     hidden_global_offset_x
      - .offset:         496
        .size:           8
        .value_kind:     hidden_global_offset_y
      - .offset:         504
        .size:           8
        .value_kind:     hidden_global_offset_z
      - .offset:         512
        .size:           2
        .value_kind:     hidden_grid_dims
    .group_segment_fixed_size: 0
    .kernarg_segment_align: 8
    .kernarg_segment_size: 704
    .language:       OpenCL C
    .language_version:
      - 2
      - 0
    .max_flat_workgroup_size: 1024
    .name:           _ZN2at6native12cross_kernelIf16OffsetCalculatorILi3EjLb0EElEEviPT_PKS4_S7_T0_T1_S9_S9_
    .private_segment_fixed_size: 0
    .sgpr_count:     62
    .sgpr_spill_count: 0
    .symbol:         _ZN2at6native12cross_kernelIf16OffsetCalculatorILi3EjLb0EElEEviPT_PKS4_S7_T0_T1_S9_S9_.kd
    .uniform_work_group_size: 1
    .uses_dynamic_stack: false
    .vgpr_count:     18
    .vgpr_spill_count: 0
    .wavefront_size: 64
  - .args:
      - .offset:         0
        .size:           4
        .value_kind:     by_value
      - .address_space:  global
        .offset:         8
        .size:           8
        .value_kind:     global_buffer
      - .address_space:  global
        .offset:         16
        .size:           8
        .value_kind:     global_buffer
      - .address_space:  global
        .offset:         24
        .size:           8
        .value_kind:     global_buffer
      - .offset:         32
        .size:           388
        .value_kind:     by_value
      - .offset:         420
        .size:           4
        .value_kind:     by_value
      - .offset:         424
        .size:           4
        .value_kind:     by_value
      - .offset:         428
        .size:           4
        .value_kind:     by_value
      - .offset:         432
        .size:           4
        .value_kind:     hidden_block_count_x
      - .offset:         436
        .size:           4
        .value_kind:     hidden_block_count_y
      - .offset:         440
        .size:           4
        .value_kind:     hidden_block_count_z
      - .offset:         444
        .size:           2
        .value_kind:     hidden_group_size_x
      - .offset:         446
        .size:           2
        .value_kind:     hidden_group_size_y
      - .offset:         448
        .size:           2
        .value_kind:     hidden_group_size_z
      - .offset:         450
        .size:           2
        .value_kind:     hidden_remainder_x
      - .offset:         452
        .size:           2
        .value_kind:     hidden_remainder_y
      - .offset:         454
        .size:           2
        .value_kind:     hidden_remainder_z
      - .offset:         472
        .size:           8
        .value_kind:     hidden_global_offset_x
      - .offset:         480
        .size:           8
        .value_kind:     hidden_global_offset_y
      - .offset:         488
        .size:           8
        .value_kind:     hidden_global_offset_z
      - .offset:         496
        .size:           2
        .value_kind:     hidden_grid_dims
    .group_segment_fixed_size: 0
    .kernarg_segment_align: 8
    .kernarg_segment_size: 688
    .language:       OpenCL C
    .language_version:
      - 2
      - 0
    .max_flat_workgroup_size: 1024
    .name:           _ZN2at6native12cross_kernelIf16OffsetCalculatorILi3EjLb0EEiEEviPT_PKS4_S7_T0_T1_S9_S9_
    .private_segment_fixed_size: 0
    .sgpr_count:     62
    .sgpr_spill_count: 0
    .symbol:         _ZN2at6native12cross_kernelIf16OffsetCalculatorILi3EjLb0EEiEEviPT_PKS4_S7_T0_T1_S9_S9_.kd
    .uniform_work_group_size: 1
    .uses_dynamic_stack: false
    .vgpr_count:     18
    .vgpr_spill_count: 0
    .wavefront_size: 64
  - .args:
      - .offset:         0
        .size:           4
        .value_kind:     by_value
      - .address_space:  global
        .offset:         8
        .size:           8
        .value_kind:     global_buffer
      - .address_space:  global
        .offset:         16
        .size:           8
        .value_kind:     global_buffer
      - .address_space:  global
        .offset:         24
        .size:           8
        .value_kind:     global_buffer
      - .offset:         32
        .size:           388
        .value_kind:     by_value
      - .offset:         424
        .size:           8
        .value_kind:     by_value
      - .offset:         432
        .size:           8
        .value_kind:     by_value
      - .offset:         440
        .size:           8
        .value_kind:     by_value
      - .offset:         448
        .size:           4
        .value_kind:     hidden_block_count_x
      - .offset:         452
        .size:           4
        .value_kind:     hidden_block_count_y
      - .offset:         456
        .size:           4
        .value_kind:     hidden_block_count_z
      - .offset:         460
        .size:           2
        .value_kind:     hidden_group_size_x
      - .offset:         462
        .size:           2
        .value_kind:     hidden_group_size_y
      - .offset:         464
        .size:           2
        .value_kind:     hidden_group_size_z
      - .offset:         466
        .size:           2
        .value_kind:     hidden_remainder_x
      - .offset:         468
        .size:           2
        .value_kind:     hidden_remainder_y
      - .offset:         470
        .size:           2
        .value_kind:     hidden_remainder_z
      - .offset:         488
        .size:           8
        .value_kind:     hidden_global_offset_x
      - .offset:         496
        .size:           8
        .value_kind:     hidden_global_offset_y
      - .offset:         504
        .size:           8
        .value_kind:     hidden_global_offset_z
      - .offset:         512
        .size:           2
        .value_kind:     hidden_grid_dims
    .group_segment_fixed_size: 0
    .kernarg_segment_align: 8
    .kernarg_segment_size: 704
    .language:       OpenCL C
    .language_version:
      - 2
      - 0
    .max_flat_workgroup_size: 1024
    .name:           _ZN2at6native12cross_kernelIN3c107complexIdEE16OffsetCalculatorILi3EjLb0EElEEviPT_PKS7_SA_T0_T1_SC_SC_
    .private_segment_fixed_size: 0
    .sgpr_count:     62
    .sgpr_spill_count: 0
    .symbol:         _ZN2at6native12cross_kernelIN3c107complexIdEE16OffsetCalculatorILi3EjLb0EElEEviPT_PKS7_SA_T0_T1_SC_SC_.kd
    .uniform_work_group_size: 1
    .uses_dynamic_stack: false
    .vgpr_count:     40
    .vgpr_spill_count: 0
    .wavefront_size: 64
  - .args:
      - .offset:         0
        .size:           4
        .value_kind:     by_value
      - .address_space:  global
        .offset:         8
        .size:           8
        .value_kind:     global_buffer
      - .address_space:  global
        .offset:         16
        .size:           8
        .value_kind:     global_buffer
      - .address_space:  global
        .offset:         24
        .size:           8
        .value_kind:     global_buffer
      - .offset:         32
        .size:           388
        .value_kind:     by_value
      - .offset:         420
        .size:           4
        .value_kind:     by_value
      - .offset:         424
        .size:           4
        .value_kind:     by_value
      - .offset:         428
        .size:           4
        .value_kind:     by_value
      - .offset:         432
        .size:           4
        .value_kind:     hidden_block_count_x
      - .offset:         436
        .size:           4
        .value_kind:     hidden_block_count_y
      - .offset:         440
        .size:           4
        .value_kind:     hidden_block_count_z
      - .offset:         444
        .size:           2
        .value_kind:     hidden_group_size_x
      - .offset:         446
        .size:           2
        .value_kind:     hidden_group_size_y
      - .offset:         448
        .size:           2
        .value_kind:     hidden_group_size_z
      - .offset:         450
        .size:           2
        .value_kind:     hidden_remainder_x
      - .offset:         452
        .size:           2
        .value_kind:     hidden_remainder_y
      - .offset:         454
        .size:           2
        .value_kind:     hidden_remainder_z
      - .offset:         472
        .size:           8
        .value_kind:     hidden_global_offset_x
      - .offset:         480
        .size:           8
        .value_kind:     hidden_global_offset_y
      - .offset:         488
        .size:           8
        .value_kind:     hidden_global_offset_z
      - .offset:         496
        .size:           2
        .value_kind:     hidden_grid_dims
    .group_segment_fixed_size: 0
    .kernarg_segment_align: 8
    .kernarg_segment_size: 688
    .language:       OpenCL C
    .language_version:
      - 2
      - 0
    .max_flat_workgroup_size: 1024
    .name:           _ZN2at6native12cross_kernelIN3c107complexIdEE16OffsetCalculatorILi3EjLb0EEiEEviPT_PKS7_SA_T0_T1_SC_SC_
    .private_segment_fixed_size: 0
    .sgpr_count:     62
    .sgpr_spill_count: 0
    .symbol:         _ZN2at6native12cross_kernelIN3c107complexIdEE16OffsetCalculatorILi3EjLb0EEiEEviPT_PKS7_SA_T0_T1_SC_SC_.kd
    .uniform_work_group_size: 1
    .uses_dynamic_stack: false
    .vgpr_count:     40
    .vgpr_spill_count: 0
    .wavefront_size: 64
  - .args:
      - .offset:         0
        .size:           4
        .value_kind:     by_value
      - .address_space:  global
        .offset:         8
        .size:           8
        .value_kind:     global_buffer
      - .address_space:  global
        .offset:         16
        .size:           8
        .value_kind:     global_buffer
      - .address_space:  global
        .offset:         24
        .size:           8
        .value_kind:     global_buffer
      - .offset:         32
        .size:           388
        .value_kind:     by_value
      - .offset:         424
        .size:           8
        .value_kind:     by_value
      - .offset:         432
        .size:           8
        .value_kind:     by_value
      - .offset:         440
        .size:           8
        .value_kind:     by_value
      - .offset:         448
        .size:           4
        .value_kind:     hidden_block_count_x
      - .offset:         452
        .size:           4
        .value_kind:     hidden_block_count_y
      - .offset:         456
        .size:           4
        .value_kind:     hidden_block_count_z
      - .offset:         460
        .size:           2
        .value_kind:     hidden_group_size_x
      - .offset:         462
        .size:           2
        .value_kind:     hidden_group_size_y
      - .offset:         464
        .size:           2
        .value_kind:     hidden_group_size_z
      - .offset:         466
        .size:           2
        .value_kind:     hidden_remainder_x
      - .offset:         468
        .size:           2
        .value_kind:     hidden_remainder_y
      - .offset:         470
        .size:           2
        .value_kind:     hidden_remainder_z
      - .offset:         488
        .size:           8
        .value_kind:     hidden_global_offset_x
      - .offset:         496
        .size:           8
        .value_kind:     hidden_global_offset_y
      - .offset:         504
        .size:           8
        .value_kind:     hidden_global_offset_z
      - .offset:         512
        .size:           2
        .value_kind:     hidden_grid_dims
    .group_segment_fixed_size: 0
    .kernarg_segment_align: 8
    .kernarg_segment_size: 704
    .language:       OpenCL C
    .language_version:
      - 2
      - 0
    .max_flat_workgroup_size: 1024
    .name:           _ZN2at6native12cross_kernelIN3c107complexIfEE16OffsetCalculatorILi3EjLb0EElEEviPT_PKS7_SA_T0_T1_SC_SC_
    .private_segment_fixed_size: 0
    .sgpr_count:     62
    .sgpr_spill_count: 0
    .symbol:         _ZN2at6native12cross_kernelIN3c107complexIfEE16OffsetCalculatorILi3EjLb0EElEEviPT_PKS7_SA_T0_T1_SC_SC_.kd
    .uniform_work_group_size: 1
    .uses_dynamic_stack: false
    .vgpr_count:     21
    .vgpr_spill_count: 0
    .wavefront_size: 64
  - .args:
      - .offset:         0
        .size:           4
        .value_kind:     by_value
      - .address_space:  global
        .offset:         8
        .size:           8
        .value_kind:     global_buffer
      - .address_space:  global
        .offset:         16
        .size:           8
        .value_kind:     global_buffer
      - .address_space:  global
        .offset:         24
        .size:           8
        .value_kind:     global_buffer
      - .offset:         32
        .size:           388
        .value_kind:     by_value
      - .offset:         420
        .size:           4
        .value_kind:     by_value
      - .offset:         424
        .size:           4
        .value_kind:     by_value
      - .offset:         428
        .size:           4
        .value_kind:     by_value
      - .offset:         432
        .size:           4
        .value_kind:     hidden_block_count_x
      - .offset:         436
        .size:           4
        .value_kind:     hidden_block_count_y
      - .offset:         440
        .size:           4
        .value_kind:     hidden_block_count_z
      - .offset:         444
        .size:           2
        .value_kind:     hidden_group_size_x
      - .offset:         446
        .size:           2
        .value_kind:     hidden_group_size_y
      - .offset:         448
        .size:           2
        .value_kind:     hidden_group_size_z
      - .offset:         450
        .size:           2
        .value_kind:     hidden_remainder_x
      - .offset:         452
        .size:           2
        .value_kind:     hidden_remainder_y
      - .offset:         454
        .size:           2
        .value_kind:     hidden_remainder_z
      - .offset:         472
        .size:           8
        .value_kind:     hidden_global_offset_x
      - .offset:         480
        .size:           8
        .value_kind:     hidden_global_offset_y
      - .offset:         488
        .size:           8
        .value_kind:     hidden_global_offset_z
      - .offset:         496
        .size:           2
        .value_kind:     hidden_grid_dims
    .group_segment_fixed_size: 0
    .kernarg_segment_align: 8
    .kernarg_segment_size: 688
    .language:       OpenCL C
    .language_version:
      - 2
      - 0
    .max_flat_workgroup_size: 1024
    .name:           _ZN2at6native12cross_kernelIN3c107complexIfEE16OffsetCalculatorILi3EjLb0EEiEEviPT_PKS7_SA_T0_T1_SC_SC_
    .private_segment_fixed_size: 0
    .sgpr_count:     62
    .sgpr_spill_count: 0
    .symbol:         _ZN2at6native12cross_kernelIN3c107complexIfEE16OffsetCalculatorILi3EjLb0EEiEEviPT_PKS7_SA_T0_T1_SC_SC_.kd
    .uniform_work_group_size: 1
    .uses_dynamic_stack: false
    .vgpr_count:     21
    .vgpr_spill_count: 0
    .wavefront_size: 64
  - .args:
      - .offset:         0
        .size:           4
        .value_kind:     by_value
      - .address_space:  global
        .offset:         8
        .size:           8
        .value_kind:     global_buffer
      - .address_space:  global
        .offset:         16
        .size:           8
        .value_kind:     global_buffer
      - .address_space:  global
        .offset:         24
        .size:           8
        .value_kind:     global_buffer
      - .offset:         32
        .size:           388
        .value_kind:     by_value
      - .offset:         424
        .size:           8
        .value_kind:     by_value
      - .offset:         432
        .size:           8
        .value_kind:     by_value
      - .offset:         440
        .size:           8
        .value_kind:     by_value
      - .offset:         448
        .size:           4
        .value_kind:     hidden_block_count_x
      - .offset:         452
        .size:           4
        .value_kind:     hidden_block_count_y
      - .offset:         456
        .size:           4
        .value_kind:     hidden_block_count_z
      - .offset:         460
        .size:           2
        .value_kind:     hidden_group_size_x
      - .offset:         462
        .size:           2
        .value_kind:     hidden_group_size_y
      - .offset:         464
        .size:           2
        .value_kind:     hidden_group_size_z
      - .offset:         466
        .size:           2
        .value_kind:     hidden_remainder_x
      - .offset:         468
        .size:           2
        .value_kind:     hidden_remainder_y
      - .offset:         470
        .size:           2
        .value_kind:     hidden_remainder_z
      - .offset:         488
        .size:           8
        .value_kind:     hidden_global_offset_x
      - .offset:         496
        .size:           8
        .value_kind:     hidden_global_offset_y
      - .offset:         504
        .size:           8
        .value_kind:     hidden_global_offset_z
      - .offset:         512
        .size:           2
        .value_kind:     hidden_grid_dims
    .group_segment_fixed_size: 0
    .kernarg_segment_align: 8
    .kernarg_segment_size: 704
    .language:       OpenCL C
    .language_version:
      - 2
      - 0
    .max_flat_workgroup_size: 1024
    .name:           _ZN2at6native12cross_kernelIN3c104HalfE16OffsetCalculatorILi3EjLb0EElEEviPT_PKS6_S9_T0_T1_SB_SB_
    .private_segment_fixed_size: 0
    .sgpr_count:     62
    .sgpr_spill_count: 0
    .symbol:         _ZN2at6native12cross_kernelIN3c104HalfE16OffsetCalculatorILi3EjLb0EElEEviPT_PKS6_S9_T0_T1_SB_SB_.kd
    .uniform_work_group_size: 1
    .uses_dynamic_stack: false
    .vgpr_count:     19
    .vgpr_spill_count: 0
    .wavefront_size: 64
  - .args:
      - .offset:         0
        .size:           4
        .value_kind:     by_value
      - .address_space:  global
        .offset:         8
        .size:           8
        .value_kind:     global_buffer
      - .address_space:  global
        .offset:         16
        .size:           8
        .value_kind:     global_buffer
      - .address_space:  global
        .offset:         24
        .size:           8
        .value_kind:     global_buffer
      - .offset:         32
        .size:           388
        .value_kind:     by_value
      - .offset:         420
        .size:           4
        .value_kind:     by_value
      - .offset:         424
        .size:           4
        .value_kind:     by_value
      - .offset:         428
        .size:           4
        .value_kind:     by_value
      - .offset:         432
        .size:           4
        .value_kind:     hidden_block_count_x
      - .offset:         436
        .size:           4
        .value_kind:     hidden_block_count_y
      - .offset:         440
        .size:           4
        .value_kind:     hidden_block_count_z
      - .offset:         444
        .size:           2
        .value_kind:     hidden_group_size_x
      - .offset:         446
        .size:           2
        .value_kind:     hidden_group_size_y
      - .offset:         448
        .size:           2
        .value_kind:     hidden_group_size_z
      - .offset:         450
        .size:           2
        .value_kind:     hidden_remainder_x
      - .offset:         452
        .size:           2
        .value_kind:     hidden_remainder_y
      - .offset:         454
        .size:           2
        .value_kind:     hidden_remainder_z
      - .offset:         472
        .size:           8
        .value_kind:     hidden_global_offset_x
      - .offset:         480
        .size:           8
        .value_kind:     hidden_global_offset_y
      - .offset:         488
        .size:           8
        .value_kind:     hidden_global_offset_z
      - .offset:         496
        .size:           2
        .value_kind:     hidden_grid_dims
    .group_segment_fixed_size: 0
    .kernarg_segment_align: 8
    .kernarg_segment_size: 688
    .language:       OpenCL C
    .language_version:
      - 2
      - 0
    .max_flat_workgroup_size: 1024
    .name:           _ZN2at6native12cross_kernelIN3c104HalfE16OffsetCalculatorILi3EjLb0EEiEEviPT_PKS6_S9_T0_T1_SB_SB_
    .private_segment_fixed_size: 0
    .sgpr_count:     62
    .sgpr_spill_count: 0
    .symbol:         _ZN2at6native12cross_kernelIN3c104HalfE16OffsetCalculatorILi3EjLb0EEiEEviPT_PKS6_S9_T0_T1_SB_SB_.kd
    .uniform_work_group_size: 1
    .uses_dynamic_stack: false
    .vgpr_count:     19
    .vgpr_spill_count: 0
    .wavefront_size: 64
  - .args:
      - .offset:         0
        .size:           4
        .value_kind:     by_value
      - .address_space:  global
        .offset:         8
        .size:           8
        .value_kind:     global_buffer
      - .address_space:  global
        .offset:         16
        .size:           8
        .value_kind:     global_buffer
      - .address_space:  global
        .offset:         24
        .size:           8
        .value_kind:     global_buffer
      - .offset:         32
        .size:           388
        .value_kind:     by_value
      - .offset:         424
        .size:           8
        .value_kind:     by_value
      - .offset:         432
        .size:           8
        .value_kind:     by_value
      - .offset:         440
        .size:           8
        .value_kind:     by_value
      - .offset:         448
        .size:           4
        .value_kind:     hidden_block_count_x
      - .offset:         452
        .size:           4
        .value_kind:     hidden_block_count_y
      - .offset:         456
        .size:           4
        .value_kind:     hidden_block_count_z
      - .offset:         460
        .size:           2
        .value_kind:     hidden_group_size_x
      - .offset:         462
        .size:           2
        .value_kind:     hidden_group_size_y
      - .offset:         464
        .size:           2
        .value_kind:     hidden_group_size_z
      - .offset:         466
        .size:           2
        .value_kind:     hidden_remainder_x
      - .offset:         468
        .size:           2
        .value_kind:     hidden_remainder_y
      - .offset:         470
        .size:           2
        .value_kind:     hidden_remainder_z
      - .offset:         488
        .size:           8
        .value_kind:     hidden_global_offset_x
      - .offset:         496
        .size:           8
        .value_kind:     hidden_global_offset_y
      - .offset:         504
        .size:           8
        .value_kind:     hidden_global_offset_z
      - .offset:         512
        .size:           2
        .value_kind:     hidden_grid_dims
    .group_segment_fixed_size: 0
    .kernarg_segment_align: 8
    .kernarg_segment_size: 704
    .language:       OpenCL C
    .language_version:
      - 2
      - 0
    .max_flat_workgroup_size: 1024
    .name:           _ZN2at6native12cross_kernelIN3c108BFloat16E16OffsetCalculatorILi3EjLb0EElEEviPT_PKS6_S9_T0_T1_SB_SB_
    .private_segment_fixed_size: 0
    .sgpr_count:     64
    .sgpr_spill_count: 0
    .symbol:         _ZN2at6native12cross_kernelIN3c108BFloat16E16OffsetCalculatorILi3EjLb0EElEEviPT_PKS6_S9_T0_T1_SB_SB_.kd
    .uniform_work_group_size: 1
    .uses_dynamic_stack: false
    .vgpr_count:     21
    .vgpr_spill_count: 0
    .wavefront_size: 64
  - .args:
      - .offset:         0
        .size:           4
        .value_kind:     by_value
      - .address_space:  global
        .offset:         8
        .size:           8
        .value_kind:     global_buffer
      - .address_space:  global
        .offset:         16
        .size:           8
        .value_kind:     global_buffer
      - .address_space:  global
        .offset:         24
        .size:           8
        .value_kind:     global_buffer
      - .offset:         32
        .size:           388
        .value_kind:     by_value
      - .offset:         420
        .size:           4
        .value_kind:     by_value
      - .offset:         424
        .size:           4
        .value_kind:     by_value
      - .offset:         428
        .size:           4
        .value_kind:     by_value
      - .offset:         432
        .size:           4
        .value_kind:     hidden_block_count_x
      - .offset:         436
        .size:           4
        .value_kind:     hidden_block_count_y
      - .offset:         440
        .size:           4
        .value_kind:     hidden_block_count_z
      - .offset:         444
        .size:           2
        .value_kind:     hidden_group_size_x
      - .offset:         446
        .size:           2
        .value_kind:     hidden_group_size_y
      - .offset:         448
        .size:           2
        .value_kind:     hidden_group_size_z
      - .offset:         450
        .size:           2
        .value_kind:     hidden_remainder_x
      - .offset:         452
        .size:           2
        .value_kind:     hidden_remainder_y
      - .offset:         454
        .size:           2
        .value_kind:     hidden_remainder_z
      - .offset:         472
        .size:           8
        .value_kind:     hidden_global_offset_x
      - .offset:         480
        .size:           8
        .value_kind:     hidden_global_offset_y
      - .offset:         488
        .size:           8
        .value_kind:     hidden_global_offset_z
      - .offset:         496
        .size:           2
        .value_kind:     hidden_grid_dims
    .group_segment_fixed_size: 0
    .kernarg_segment_align: 8
    .kernarg_segment_size: 688
    .language:       OpenCL C
    .language_version:
      - 2
      - 0
    .max_flat_workgroup_size: 1024
    .name:           _ZN2at6native12cross_kernelIN3c108BFloat16E16OffsetCalculatorILi3EjLb0EEiEEviPT_PKS6_S9_T0_T1_SB_SB_
    .private_segment_fixed_size: 0
    .sgpr_count:     64
    .sgpr_spill_count: 0
    .symbol:         _ZN2at6native12cross_kernelIN3c108BFloat16E16OffsetCalculatorILi3EjLb0EEiEEviPT_PKS6_S9_T0_T1_SB_SB_.kd
    .uniform_work_group_size: 1
    .uses_dynamic_stack: false
    .vgpr_count:     21
    .vgpr_spill_count: 0
    .wavefront_size: 64
amdhsa.target:   amdgcn-amd-amdhsa--gfx906
amdhsa.version:
  - 1
  - 2
...

	.end_amdgpu_metadata
